;; amdgpu-corpus repo=ROCm/rocFFT kind=compiled arch=gfx1030 opt=O3
	.text
	.amdgcn_target "amdgcn-amd-amdhsa--gfx1030"
	.amdhsa_code_object_version 6
	.protected	fft_rtc_back_len1200_factors_5_5_16_3_wgs_225_tpt_75_halfLds_half_ip_CI_sbrr_dirReg ; -- Begin function fft_rtc_back_len1200_factors_5_5_16_3_wgs_225_tpt_75_halfLds_half_ip_CI_sbrr_dirReg
	.globl	fft_rtc_back_len1200_factors_5_5_16_3_wgs_225_tpt_75_halfLds_half_ip_CI_sbrr_dirReg
	.p2align	8
	.type	fft_rtc_back_len1200_factors_5_5_16_3_wgs_225_tpt_75_halfLds_half_ip_CI_sbrr_dirReg,@function
fft_rtc_back_len1200_factors_5_5_16_3_wgs_225_tpt_75_halfLds_half_ip_CI_sbrr_dirReg: ; @fft_rtc_back_len1200_factors_5_5_16_3_wgs_225_tpt_75_halfLds_half_ip_CI_sbrr_dirReg
; %bb.0:
	s_clause 0x1
	s_load_dwordx2 s[14:15], s[4:5], 0x18
	s_load_dwordx4 s[8:11], s[4:5], 0x0
	v_mul_u32_u24_e32 v1, 0x36a, v0
	v_mov_b32_e32 v5, 0
	v_mov_b32_e32 v3, 0
	v_mov_b32_e32 v4, 0
	s_load_dwordx2 s[12:13], s[4:5], 0x50
	s_waitcnt lgkmcnt(0)
	s_load_dwordx2 s[2:3], s[14:15], 0x0
	v_lshrrev_b32_e32 v1, 16, v1
	v_cmp_lt_u64_e64 s0, s[10:11], 2
	v_mad_u64_u32 v[1:2], null, s6, 3, v[1:2]
	v_mov_b32_e32 v2, v5
	s_and_b32 vcc_lo, exec_lo, s0
	v_mov_b32_e32 v10, v2
	v_mov_b32_e32 v9, v1
	s_cbranch_vccnz .LBB0_8
; %bb.1:
	s_load_dwordx2 s[0:1], s[4:5], 0x10
	v_mov_b32_e32 v3, 0
	v_mov_b32_e32 v8, v2
	s_add_u32 s6, s14, 8
	v_mov_b32_e32 v4, 0
	v_mov_b32_e32 v7, v1
	s_addc_u32 s7, s15, 0
	s_mov_b64 s[18:19], 1
	s_waitcnt lgkmcnt(0)
	s_add_u32 s16, s0, 8
	s_addc_u32 s17, s1, 0
.LBB0_2:                                ; =>This Inner Loop Header: Depth=1
	s_load_dwordx2 s[20:21], s[16:17], 0x0
                                        ; implicit-def: $vgpr9_vgpr10
	s_mov_b32 s0, exec_lo
	s_waitcnt lgkmcnt(0)
	v_or_b32_e32 v6, s21, v8
	v_cmpx_ne_u64_e32 0, v[5:6]
	s_xor_b32 s1, exec_lo, s0
	s_cbranch_execz .LBB0_4
; %bb.3:                                ;   in Loop: Header=BB0_2 Depth=1
	v_cvt_f32_u32_e32 v2, s20
	v_cvt_f32_u32_e32 v6, s21
	s_sub_u32 s0, 0, s20
	s_subb_u32 s22, 0, s21
	v_fmac_f32_e32 v2, 0x4f800000, v6
	v_rcp_f32_e32 v2, v2
	v_mul_f32_e32 v2, 0x5f7ffffc, v2
	v_mul_f32_e32 v6, 0x2f800000, v2
	v_trunc_f32_e32 v6, v6
	v_fmac_f32_e32 v2, 0xcf800000, v6
	v_cvt_u32_f32_e32 v6, v6
	v_cvt_u32_f32_e32 v2, v2
	v_mul_lo_u32 v9, s0, v6
	v_mul_hi_u32 v10, s0, v2
	v_mul_lo_u32 v11, s22, v2
	v_add_nc_u32_e32 v9, v10, v9
	v_mul_lo_u32 v10, s0, v2
	v_add_nc_u32_e32 v9, v9, v11
	v_mul_hi_u32 v11, v2, v10
	v_mul_lo_u32 v12, v2, v9
	v_mul_hi_u32 v13, v2, v9
	v_mul_hi_u32 v14, v6, v10
	v_mul_lo_u32 v10, v6, v10
	v_mul_hi_u32 v15, v6, v9
	v_mul_lo_u32 v9, v6, v9
	v_add_co_u32 v11, vcc_lo, v11, v12
	v_add_co_ci_u32_e32 v12, vcc_lo, 0, v13, vcc_lo
	v_add_co_u32 v10, vcc_lo, v11, v10
	v_add_co_ci_u32_e32 v10, vcc_lo, v12, v14, vcc_lo
	v_add_co_ci_u32_e32 v11, vcc_lo, 0, v15, vcc_lo
	v_add_co_u32 v9, vcc_lo, v10, v9
	v_add_co_ci_u32_e32 v10, vcc_lo, 0, v11, vcc_lo
	v_add_co_u32 v2, vcc_lo, v2, v9
	v_add_co_ci_u32_e32 v6, vcc_lo, v6, v10, vcc_lo
	v_mul_hi_u32 v9, s0, v2
	v_mul_lo_u32 v11, s22, v2
	v_mul_lo_u32 v10, s0, v6
	v_add_nc_u32_e32 v9, v9, v10
	v_mul_lo_u32 v10, s0, v2
	v_add_nc_u32_e32 v9, v9, v11
	v_mul_hi_u32 v11, v2, v10
	v_mul_lo_u32 v12, v2, v9
	v_mul_hi_u32 v13, v2, v9
	v_mul_hi_u32 v14, v6, v10
	v_mul_lo_u32 v10, v6, v10
	v_mul_hi_u32 v15, v6, v9
	v_mul_lo_u32 v9, v6, v9
	v_add_co_u32 v11, vcc_lo, v11, v12
	v_add_co_ci_u32_e32 v12, vcc_lo, 0, v13, vcc_lo
	v_add_co_u32 v10, vcc_lo, v11, v10
	v_add_co_ci_u32_e32 v10, vcc_lo, v12, v14, vcc_lo
	v_add_co_ci_u32_e32 v11, vcc_lo, 0, v15, vcc_lo
	v_add_co_u32 v9, vcc_lo, v10, v9
	v_add_co_ci_u32_e32 v10, vcc_lo, 0, v11, vcc_lo
	v_add_co_u32 v2, vcc_lo, v2, v9
	v_add_co_ci_u32_e32 v6, vcc_lo, v6, v10, vcc_lo
	v_mul_hi_u32 v15, v7, v2
	v_mad_u64_u32 v[11:12], null, v8, v2, 0
	v_mad_u64_u32 v[9:10], null, v7, v6, 0
	v_mad_u64_u32 v[13:14], null, v8, v6, 0
	v_add_co_u32 v2, vcc_lo, v15, v9
	v_add_co_ci_u32_e32 v6, vcc_lo, 0, v10, vcc_lo
	v_add_co_u32 v2, vcc_lo, v2, v11
	v_add_co_ci_u32_e32 v2, vcc_lo, v6, v12, vcc_lo
	v_add_co_ci_u32_e32 v6, vcc_lo, 0, v14, vcc_lo
	v_add_co_u32 v2, vcc_lo, v2, v13
	v_add_co_ci_u32_e32 v6, vcc_lo, 0, v6, vcc_lo
	v_mul_lo_u32 v11, s21, v2
	v_mad_u64_u32 v[9:10], null, s20, v2, 0
	v_mul_lo_u32 v12, s20, v6
	v_sub_co_u32 v9, vcc_lo, v7, v9
	v_add3_u32 v10, v10, v12, v11
	v_sub_nc_u32_e32 v11, v8, v10
	v_subrev_co_ci_u32_e64 v11, s0, s21, v11, vcc_lo
	v_add_co_u32 v12, s0, v2, 2
	v_add_co_ci_u32_e64 v13, s0, 0, v6, s0
	v_sub_co_u32 v14, s0, v9, s20
	v_sub_co_ci_u32_e32 v10, vcc_lo, v8, v10, vcc_lo
	v_subrev_co_ci_u32_e64 v11, s0, 0, v11, s0
	v_cmp_le_u32_e32 vcc_lo, s20, v14
	v_cmp_eq_u32_e64 s0, s21, v10
	v_cndmask_b32_e64 v14, 0, -1, vcc_lo
	v_cmp_le_u32_e32 vcc_lo, s21, v11
	v_cndmask_b32_e64 v15, 0, -1, vcc_lo
	v_cmp_le_u32_e32 vcc_lo, s20, v9
	;; [unrolled: 2-line block ×3, first 2 shown]
	v_cndmask_b32_e64 v16, 0, -1, vcc_lo
	v_cmp_eq_u32_e32 vcc_lo, s21, v11
	v_cndmask_b32_e64 v9, v16, v9, s0
	v_cndmask_b32_e32 v11, v15, v14, vcc_lo
	v_add_co_u32 v14, vcc_lo, v2, 1
	v_add_co_ci_u32_e32 v15, vcc_lo, 0, v6, vcc_lo
	v_cmp_ne_u32_e32 vcc_lo, 0, v11
	v_cndmask_b32_e32 v10, v15, v13, vcc_lo
	v_cndmask_b32_e32 v11, v14, v12, vcc_lo
	v_cmp_ne_u32_e32 vcc_lo, 0, v9
	v_cndmask_b32_e32 v10, v6, v10, vcc_lo
	v_cndmask_b32_e32 v9, v2, v11, vcc_lo
.LBB0_4:                                ;   in Loop: Header=BB0_2 Depth=1
	s_andn2_saveexec_b32 s0, s1
	s_cbranch_execz .LBB0_6
; %bb.5:                                ;   in Loop: Header=BB0_2 Depth=1
	v_cvt_f32_u32_e32 v2, s20
	s_sub_i32 s1, 0, s20
	v_rcp_iflag_f32_e32 v2, v2
	v_mul_f32_e32 v2, 0x4f7ffffe, v2
	v_cvt_u32_f32_e32 v2, v2
	v_mul_lo_u32 v6, s1, v2
	v_mul_hi_u32 v6, v2, v6
	v_add_nc_u32_e32 v2, v2, v6
	v_mul_hi_u32 v2, v7, v2
	v_mul_lo_u32 v6, v2, s20
	v_add_nc_u32_e32 v9, 1, v2
	v_sub_nc_u32_e32 v6, v7, v6
	v_subrev_nc_u32_e32 v10, s20, v6
	v_cmp_le_u32_e32 vcc_lo, s20, v6
	v_cndmask_b32_e32 v6, v6, v10, vcc_lo
	v_cndmask_b32_e32 v2, v2, v9, vcc_lo
	v_mov_b32_e32 v10, v5
	v_cmp_le_u32_e32 vcc_lo, s20, v6
	v_add_nc_u32_e32 v9, 1, v2
	v_cndmask_b32_e32 v9, v2, v9, vcc_lo
.LBB0_6:                                ;   in Loop: Header=BB0_2 Depth=1
	s_or_b32 exec_lo, exec_lo, s0
	s_load_dwordx2 s[0:1], s[6:7], 0x0
	v_mul_lo_u32 v2, v10, s20
	v_mul_lo_u32 v6, v9, s21
	v_mad_u64_u32 v[11:12], null, v9, s20, 0
	s_add_u32 s18, s18, 1
	s_addc_u32 s19, s19, 0
	s_add_u32 s6, s6, 8
	s_addc_u32 s7, s7, 0
	s_add_u32 s16, s16, 8
	s_addc_u32 s17, s17, 0
	v_add3_u32 v2, v12, v6, v2
	v_sub_co_u32 v6, vcc_lo, v7, v11
	v_sub_co_ci_u32_e32 v2, vcc_lo, v8, v2, vcc_lo
	s_waitcnt lgkmcnt(0)
	v_mul_lo_u32 v7, s1, v6
	v_mul_lo_u32 v2, s0, v2
	v_mad_u64_u32 v[3:4], null, s0, v6, v[3:4]
	v_cmp_ge_u64_e64 s0, s[18:19], s[10:11]
	s_and_b32 vcc_lo, exec_lo, s0
	v_add3_u32 v4, v7, v4, v2
	s_cbranch_vccnz .LBB0_8
; %bb.7:                                ;   in Loop: Header=BB0_2 Depth=1
	v_mov_b32_e32 v7, v9
	v_mov_b32_e32 v8, v10
	s_branch .LBB0_2
.LBB0_8:
	s_lshl_b64 s[0:1], s[10:11], 3
	v_mul_hi_u32 v2, 0x369d037, v0
	s_add_u32 s0, s14, s0
	s_addc_u32 s1, s15, s1
                                        ; implicit-def: $vgpr12
	s_load_dwordx2 s[0:1], s[0:1], 0x0
	s_load_dwordx2 s[4:5], s[4:5], 0x20
	v_mul_u32_u24_e32 v5, 0x4b, v2
	v_sub_nc_u32_e32 v8, v0, v5
	v_add_nc_u32_e32 v11, 0x4b, v8
	s_waitcnt lgkmcnt(0)
	v_mul_lo_u32 v6, s0, v10
	v_mul_lo_u32 v7, s1, v9
	v_mad_u64_u32 v[2:3], null, s0, v9, v[3:4]
	v_cmp_gt_u64_e32 vcc_lo, s[4:5], v[9:10]
	v_cmp_le_u64_e64 s0, s[4:5], v[9:10]
	v_add_nc_u32_e32 v9, 0x96, v8
                                        ; implicit-def: $vgpr10
	v_add3_u32 v3, v7, v3, v6
	s_and_saveexec_b32 s1, s0
	s_xor_b32 s0, exec_lo, s1
; %bb.9:
	v_add_nc_u32_e32 v10, 0x4b, v8
	v_add_nc_u32_e32 v12, 0x96, v8
; %bb.10:
	s_or_saveexec_b32 s1, s0
	v_lshlrev_b64 v[4:5], 2, v[2:3]
                                        ; implicit-def: $vgpr51
                                        ; implicit-def: $vgpr6
                                        ; implicit-def: $vgpr49
                                        ; implicit-def: $vgpr0
                                        ; implicit-def: $vgpr45
                                        ; implicit-def: $vgpr7
                                        ; implicit-def: $vgpr2
                                        ; implicit-def: $vgpr20
                                        ; implicit-def: $vgpr13
                                        ; implicit-def: $vgpr43
                                        ; implicit-def: $vgpr23
                                        ; implicit-def: $vgpr27
                                        ; implicit-def: $vgpr24
                                        ; implicit-def: $vgpr25
                                        ; implicit-def: $vgpr22
                                        ; implicit-def: $vgpr42
                                        ; implicit-def: $vgpr41
                                        ; implicit-def: $vgpr44
                                        ; implicit-def: $vgpr47
                                        ; implicit-def: $vgpr48
                                        ; implicit-def: $vgpr50
                                        ; implicit-def: $vgpr46
                                        ; implicit-def: $vgpr53
                                        ; implicit-def: $vgpr54
                                        ; implicit-def: $vgpr55
                                        ; implicit-def: $vgpr52
                                        ; implicit-def: $vgpr56
                                        ; implicit-def: $vgpr57
	s_xor_b32 exec_lo, exec_lo, s1
	s_cbranch_execz .LBB0_14
; %bb.11:
	v_mad_u64_u32 v[6:7], null, s2, v8, 0
	v_add_nc_u32_e32 v10, 0xf0, v8
	v_add_nc_u32_e32 v20, 0x1e0, v8
	;; [unrolled: 1-line block ×5, first 2 shown]
	v_mad_u64_u32 v[12:13], null, s2, v10, 0
	v_mov_b32_e32 v0, v7
	v_mad_u64_u32 v[14:15], null, s2, v20, 0
	v_mad_u64_u32 v[16:17], null, s2, v22, 0
	;; [unrolled: 1-line block ×3, first 2 shown]
	v_mov_b32_e32 v0, v13
	v_add_co_u32 v3, s0, s12, v4
	v_add_nc_u32_e32 v33, 0x40b, v8
	v_add_nc_u32_e32 v36, 0x366, v8
	v_mad_u64_u32 v[18:19], null, s3, v10, v[0:1]
	v_mov_b32_e32 v0, v15
	v_mov_b32_e32 v7, v2
	;; [unrolled: 1-line block ×3, first 2 shown]
	v_add_co_ci_u32_e64 v10, s0, s13, v5, s0
	v_mad_u64_u32 v[19:20], null, s3, v20, v[0:1]
	v_mad_u64_u32 v[20:21], null, s2, v23, 0
	v_mov_b32_e32 v13, v18
	v_mad_u64_u32 v[17:18], null, s3, v22, v[2:3]
	v_add_nc_u32_e32 v2, 0x13b, v8
	v_mov_b32_e32 v15, v19
	v_mad_u64_u32 v[18:19], null, s2, v11, 0
	v_mov_b32_e32 v0, v21
	v_lshlrev_b64 v[6:7], 2, v[6:7]
	v_lshlrev_b64 v[12:13], 2, v[12:13]
	;; [unrolled: 1-line block ×4, first 2 shown]
	v_mad_u64_u32 v[21:22], null, s3, v23, v[0:1]
	v_mov_b32_e32 v0, v19
	v_mad_u64_u32 v[22:23], null, s2, v2, 0
	v_add_co_u32 v6, s0, v3, v6
	v_mad_u64_u32 v[24:25], null, s3, v11, v[0:1]
	v_mad_u64_u32 v[25:26], null, s2, v27, 0
	v_mov_b32_e32 v0, v23
	v_add_co_ci_u32_e64 v7, s0, v10, v7, s0
	v_add_co_u32 v12, s0, v3, v12
	v_mov_b32_e32 v19, v24
	v_mad_u64_u32 v[23:24], null, s3, v2, v[0:1]
	v_mov_b32_e32 v0, v26
	v_add_nc_u32_e32 v2, 0x31b, v8
	v_add_co_ci_u32_e64 v13, s0, v10, v13, s0
	v_mad_u64_u32 v[29:30], null, s2, v33, 0
	v_mad_u64_u32 v[26:27], null, s3, v27, v[0:1]
	v_mad_u64_u32 v[27:28], null, s2, v2, 0
	v_add_co_u32 v14, s0, v3, v14
	v_lshlrev_b64 v[20:21], 2, v[20:21]
	v_add_co_ci_u32_e64 v15, s0, v10, v15, s0
	v_add_co_u32 v16, s0, v3, v16
	v_mov_b32_e32 v0, v28
	v_lshlrev_b64 v[18:19], 2, v[18:19]
	v_add_co_ci_u32_e64 v17, s0, v10, v17, s0
	v_add_co_u32 v20, s0, v3, v20
	v_mad_u64_u32 v[31:32], null, s3, v2, v[0:1]
	v_lshlrev_b64 v[22:23], 2, v[22:23]
	v_mov_b32_e32 v0, v30
	v_add_co_ci_u32_e64 v21, s0, v10, v21, s0
	v_add_co_u32 v18, s0, v3, v18
	v_lshlrev_b64 v[24:25], 2, v[25:26]
	v_add_co_ci_u32_e64 v19, s0, v10, v19, s0
	v_add_co_u32 v22, s0, v3, v22
	v_mov_b32_e32 v28, v31
	v_mad_u64_u32 v[30:31], null, s3, v33, v[0:1]
	v_mad_u64_u32 v[31:32], null, s2, v9, 0
	v_add_co_ci_u32_e64 v23, s0, v10, v23, s0
	v_add_co_u32 v24, s0, v3, v24
	v_add_co_ci_u32_e64 v25, s0, v10, v25, s0
	s_clause 0x7
	global_load_dword v6, v[6:7], off
	global_load_dword v12, v[12:13], off
	;; [unrolled: 1-line block ×8, first 2 shown]
	v_add_nc_u32_e32 v7, 0x186, v8
	v_mov_b32_e32 v2, v32
	v_add_nc_u32_e32 v13, 0x276, v8
	v_lshlrev_b64 v[19:20], 2, v[27:28]
	v_lshlrev_b64 v[26:27], 2, v[29:30]
	v_mad_u64_u32 v[21:22], null, s2, v7, 0
	v_mad_u64_u32 v[23:24], null, s3, v9, v[2:3]
	;; [unrolled: 1-line block ×4, first 2 shown]
	v_mov_b32_e32 v2, v22
	v_add_co_u32 v19, s0, v3, v19
	v_mov_b32_e32 v32, v23
	v_add_co_ci_u32_e64 v20, s0, v10, v20, s0
	v_mad_u64_u32 v[22:23], null, s3, v7, v[2:3]
	v_mov_b32_e32 v2, v25
	v_add_nc_u32_e32 v7, 0x456, v8
	v_add_co_u32 v26, s0, v3, v26
	v_add_co_ci_u32_e64 v27, s0, v10, v27, s0
	v_mad_u64_u32 v[33:34], null, s3, v13, v[2:3]
	v_mad_u64_u32 v[34:35], null, s2, v7, 0
	v_mov_b32_e32 v2, v29
	v_lshlrev_b64 v[29:30], 2, v[31:32]
	v_lshlrev_b64 v[21:22], 2, v[21:22]
	s_mov_b32 s4, exec_lo
	v_mov_b32_e32 v25, v33
	v_mad_u64_u32 v[31:32], null, s3, v36, v[2:3]
	v_mov_b32_e32 v2, v35
	v_add_co_u32 v32, s0, v3, v29
	v_add_co_ci_u32_e64 v33, s0, v10, v30, s0
	v_mad_u64_u32 v[35:36], null, s3, v7, v[2:3]
	v_mov_b32_e32 v29, v31
	v_lshlrev_b64 v[23:24], 2, v[24:25]
	v_add_co_u32 v30, s0, v3, v21
	v_add_co_ci_u32_e64 v31, s0, v10, v22, s0
	v_lshlrev_b64 v[21:22], 2, v[28:29]
	v_add_co_u32 v23, s0, v3, v23
	v_lshlrev_b64 v[28:29], 2, v[34:35]
	v_add_co_ci_u32_e64 v24, s0, v10, v24, s0
	v_add_co_u32 v34, s0, v3, v21
	v_add_co_ci_u32_e64 v35, s0, v10, v22, s0
	v_add_co_u32 v36, s0, v3, v28
	v_add_co_ci_u32_e64 v37, s0, v10, v29, s0
	s_clause 0x6
	global_load_dword v19, v[19:20], off
	global_load_dword v21, v[26:27], off
	;; [unrolled: 1-line block ×7, first 2 shown]
                                        ; implicit-def: $vgpr42
                                        ; implicit-def: $vgpr22
                                        ; implicit-def: $vgpr25
                                        ; implicit-def: $vgpr24
                                        ; implicit-def: $vgpr27
                                        ; implicit-def: $vgpr23
                                        ; implicit-def: $vgpr43
                                        ; implicit-def: $vgpr13
                                        ; implicit-def: $vgpr20
                                        ; implicit-def: $vgpr2
	v_cmpx_gt_u32_e32 15, v8
	s_cbranch_execz .LBB0_13
; %bb.12:
	v_add_nc_u32_e32 v20, 0xe1, v8
	v_add_nc_u32_e32 v27, 0x1d1, v8
	;; [unrolled: 1-line block ×5, first 2 shown]
	v_mad_u64_u32 v[22:23], null, s2, v20, 0
	v_mad_u64_u32 v[24:25], null, s2, v27, 0
	;; [unrolled: 1-line block ×4, first 2 shown]
	v_mov_b32_e32 v2, v23
	v_mov_b32_e32 v13, v25
	v_mad_u64_u32 v[35:36], null, s3, v20, v[2:3]
	v_mov_b32_e32 v2, v32
	s_waitcnt vmcnt(12)
	v_mad_u64_u32 v[38:39], null, s3, v27, v[13:14]
	v_mad_u64_u32 v[36:37], null, s2, v42, 0
	;; [unrolled: 1-line block ×3, first 2 shown]
	v_mov_b32_e32 v23, v35
	v_mov_b32_e32 v2, v34
	;; [unrolled: 1-line block ×4, first 2 shown]
	v_lshlrev_b64 v[22:23], 2, v[22:23]
	v_mad_u64_u32 v[34:35], null, s3, v41, v[2:3]
	v_mov_b32_e32 v32, v39
	v_lshlrev_b64 v[24:25], 2, v[24:25]
	v_mad_u64_u32 v[37:38], null, s3, v42, v[13:14]
	v_add_co_u32 v22, s0, v3, v22
	v_lshlrev_b64 v[31:32], 2, v[31:32]
	v_add_co_ci_u32_e64 v23, s0, v10, v23, s0
	v_add_co_u32 v24, s0, v3, v24
	v_lshlrev_b64 v[33:34], 2, v[33:34]
	v_add_co_ci_u32_e64 v25, s0, v10, v25, s0
	;; [unrolled: 3-line block ×3, first 2 shown]
	v_add_co_u32 v33, s0, v3, v33
	v_add_co_ci_u32_e64 v34, s0, v10, v34, s0
	v_add_co_u32 v2, s0, v3, v35
	v_add_co_ci_u32_e64 v3, s0, v10, v36, s0
	s_clause 0x4
	global_load_dword v20, v[22:23], off
	global_load_dword v42, v[24:25], off
	;; [unrolled: 1-line block ×5, first 2 shown]
	s_waitcnt vmcnt(4)
	v_lshrrev_b32_e32 v2, 16, v20
	s_waitcnt vmcnt(3)
	v_lshrrev_b32_e32 v22, 16, v42
	;; [unrolled: 2-line block ×5, first 2 shown]
.LBB0_13:
	s_or_b32 exec_lo, exec_lo, s4
	s_waitcnt vmcnt(14)
	v_lshrrev_b32_e32 v51, 16, v6
	s_waitcnt vmcnt(9)
	v_lshrrev_b32_e32 v49, 16, v0
	;; [unrolled: 2-line block ×3, first 2 shown]
	s_waitcnt vmcnt(2)
	v_perm_b32 v41, v28, v26, 0x7060302
	s_waitcnt vmcnt(0)
	v_perm_b32 v44, v29, v30, 0x7060302
	v_perm_b32 v47, v26, v28, 0x5040100
	;; [unrolled: 1-line block ×11, first 2 shown]
	v_mov_b32_e32 v12, v9
	v_mov_b32_e32 v10, v11
.LBB0_14:
	s_or_b32 exec_lo, exec_lo, s1
	v_mul_hi_u32 v3, 0xaaaaaaab, v1
	v_add_f16_sdwa v14, v56, v6 dst_sel:DWORD dst_unused:UNUSED_PAD src0_sel:WORD_1 src1_sel:DWORD
	v_add_f16_sdwa v15, v53, v0 dst_sel:DWORD dst_unused:UNUSED_PAD src0_sel:WORD_1 src1_sel:DWORD
	;; [unrolled: 1-line block ×3, first 2 shown]
	v_add_f16_e32 v17, v20, v42
	v_add_f16_e32 v18, v27, v25
	;; [unrolled: 1-line block ×4, first 2 shown]
	v_lshrrev_b32_e32 v3, 1, v3
	v_add_f16_e32 v16, v16, v47
	v_add_f16_e32 v21, v25, v17
	;; [unrolled: 1-line block ×3, first 2 shown]
	v_sub_f16_e32 v19, v22, v13
	v_lshl_add_u32 v3, v3, 1, v3
	v_fma_f16 v17, -0.5, v18, v20
	v_add_f16_e32 v15, v15, v54
	v_add_f16_e32 v16, v16, v48
	;; [unrolled: 1-line block ×3, first 2 shown]
	v_sub_nc_u32_e32 v1, v1, v3
	v_add_f16_sdwa v21, v14, v57 dst_sel:DWORD dst_unused:UNUSED_PAD src0_sel:DWORD src1_sel:WORD_1
	v_add_f16_sdwa v26, v15, v54 dst_sel:DWORD dst_unused:UNUSED_PAD src0_sel:DWORD src1_sel:WORD_1
	;; [unrolled: 1-line block ×3, first 2 shown]
	v_add_f16_e32 v3, v43, v18
	v_mul_u32_u24_e32 v14, 0x4b0, v1
	v_add_f16_e32 v1, v43, v42
	v_fmamk_f16 v18, v19, 0xbb9c, v17
	v_sub_f16_e32 v15, v24, v23
	v_sub_f16_e32 v16, v42, v25
	v_sub_f16_e32 v29, v43, v27
	v_fmac_f16_e32 v17, 0x3b9c, v19
	v_fmac_f16_e32 v20, -0.5, v1
	v_pk_add_f16 v1, v56, v57
	v_fmac_f16_e32 v18, 0xb8b4, v15
	v_add_f16_e32 v16, v29, v16
	v_fmac_f16_e32 v17, 0x38b4, v15
	v_pk_add_f16 v30, v55, v52 neg_lo:[0,1] neg_hi:[0,1]
	v_pk_fma_f16 v1, v1, 0.5, v6 op_sel_hi:[1,0,0] neg_lo:[1,0,0] neg_hi:[1,0,0]
	v_sub_f16_e32 v6, v25, v42
	v_fmac_f16_e32 v18, 0x34f2, v16
	v_fmac_f16_e32 v17, 0x34f2, v16
	v_sub_f16_e32 v31, v27, v43
	v_pk_fma_f16 v16, 0x3b9c, v30, v1 op_sel_hi:[0,1,1] neg_lo:[0,1,0] neg_hi:[0,1,0]
	v_pk_fma_f16 v1, 0x3b9c, v30, v1 op_sel_hi:[0,1,1]
	v_pk_add_f16 v32, v56, v56 op_sel:[1,0] op_sel_hi:[0,1] neg_lo:[0,1] neg_hi:[0,1]
	v_pk_add_f16 v33, v57, v57 op_sel:[1,0] op_sel_hi:[0,1] neg_lo:[0,1] neg_hi:[0,1]
	v_pk_mul_f16 v30, 0x38b4, v30 op_sel_hi:[0,1]
	v_fmamk_f16 v29, v15, 0x3b9c, v20
	v_bfi_b32 v34, 0xffff, v1, v16
	v_fmac_f16_e32 v20, 0xbb9c, v15
	v_add_f16_e32 v15, v31, v6
	v_pk_add_f16 v31, v32, v33
	v_bfi_b32 v1, 0xffff, v16, v1
	v_pk_add_f16 v16, v30, v34 op_sel:[1,0] op_sel_hi:[0,1]
	v_fmac_f16_e32 v29, 0xb8b4, v19
	v_fmac_f16_e32 v20, 0x38b4, v19
	v_mad_u32_u24 v6, v8, 10, 0
	v_lshlrev_b32_e32 v19, 1, v14
	v_pk_add_f16 v1, v1, v30 op_sel:[0,1] op_sel_hi:[1,0] neg_lo:[0,1] neg_hi:[0,1]
	v_pk_fma_f16 v16, 0x34f2, v31, v16 op_sel_hi:[0,1,1]
	v_mul_f16_e32 v30, 0x34f2, v15
	v_pack_b32_f16 v20, v29, v20
	v_add_nc_u32_e32 v58, v6, v19
	v_pk_fma_f16 v15, 0x34f2, v31, v1 op_sel_hi:[0,1,1]
	v_alignbit_b32 v16, v16, v16, 16
	v_mul_i32_i24_e32 v29, 10, v10
	v_pk_add_f16 v1, v30, v20 op_sel_hi:[0,1]
	v_pk_add_f16 v20, v53, v54
	ds_write_b16 v58, v21
	ds_write_b64 v58, v[15:16] offset:2
	v_pk_add_f16 v16, v47, v48
	v_pk_add_f16 v15, v50, v46 neg_lo:[0,1] neg_hi:[0,1]
	v_pk_fma_f16 v0, v20, 0.5, v0 op_sel_hi:[1,0,0] neg_lo:[1,0,0] neg_hi:[1,0,0]
	v_add3_u32 v59, 0, v29, v19
	v_pk_add_f16 v20, v53, v53 op_sel:[1,0] op_sel_hi:[0,1] neg_lo:[0,1] neg_hi:[0,1]
	v_pk_add_f16 v21, v54, v54 op_sel:[1,0] op_sel_hi:[0,1] neg_lo:[0,1] neg_hi:[0,1]
	v_pk_add_f16 v29, v41, v44 neg_lo:[0,1] neg_hi:[0,1]
	v_pk_fma_f16 v7, v16, 0.5, v7 op_sel_hi:[1,0,0] neg_lo:[1,0,0] neg_hi:[1,0,0]
	v_pk_fma_f16 v16, 0x3b9c, v15, v0 op_sel_hi:[0,1,1] neg_lo:[0,1,0] neg_hi:[0,1,0]
	v_pk_fma_f16 v0, 0x3b9c, v15, v0 op_sel_hi:[0,1,1]
	v_pk_add_f16 v20, v20, v21
	v_pk_mul_f16 v15, 0x38b4, v15 op_sel_hi:[0,1]
	v_pk_fma_f16 v21, 0x3b9c, v29, v7 op_sel_hi:[0,1,1] neg_lo:[0,1,0] neg_hi:[0,1,0]
	v_pk_fma_f16 v7, 0x3b9c, v29, v7 op_sel_hi:[0,1,1]
	v_bfi_b32 v30, 0xffff, v0, v16
	v_pk_add_f16 v31, v47, v47 op_sel:[1,0] op_sel_hi:[0,1] neg_lo:[0,1] neg_hi:[0,1]
	v_pk_add_f16 v32, v48, v48 op_sel:[1,0] op_sel_hi:[0,1] neg_lo:[0,1] neg_hi:[0,1]
	v_pk_mul_f16 v29, 0x38b4, v29 op_sel_hi:[0,1]
	v_bfi_b32 v33, 0xffff, v7, v21
	v_bfi_b32 v0, 0xffff, v16, v0
	v_pk_add_f16 v16, v15, v30 op_sel:[1,0] op_sel_hi:[0,1]
	v_pk_add_f16 v30, v31, v32
	v_bfi_b32 v7, 0xffff, v21, v7
	v_pk_add_f16 v21, v29, v33 op_sel:[1,0] op_sel_hi:[0,1]
	v_mul_i32_i24_e32 v31, 10, v12
	v_pk_add_f16 v0, v0, v15 op_sel:[0,1] op_sel_hi:[1,0] neg_lo:[0,1] neg_hi:[0,1]
	v_pk_fma_f16 v16, 0x34f2, v20, v16 op_sel_hi:[0,1,1]
	v_pk_add_f16 v7, v7, v29 op_sel:[0,1] op_sel_hi:[1,0] neg_lo:[0,1] neg_hi:[0,1]
	v_pk_fma_f16 v21, 0x34f2, v30, v21 op_sel_hi:[0,1,1]
	v_add3_u32 v60, 0, v31, v19
	v_cmp_gt_u32_e64 s0, 15, v8
	v_pk_fma_f16 v15, 0x34f2, v20, v0 op_sel_hi:[0,1,1]
	v_alignbit_b32 v16, v16, v16, 16
	v_pk_fma_f16 v20, 0x34f2, v30, v7 op_sel_hi:[0,1,1]
	v_alignbit_b32 v21, v21, v21, 16
	ds_write_b16 v59, v26
	ds_write_b64 v59, v[15:16] offset:2
	ds_write_b16 v60, v28
	ds_write_b64 v60, v[20:21] offset:2
	s_and_saveexec_b32 s1, s0
	s_cbranch_execz .LBB0_16
; %bb.15:
	v_lshl_add_u32 v6, v14, 1, v6
	v_perm_b32 v0, v18, v3, 0x5040100
	ds_write_b64 v6, v[0:1] offset:2250
	ds_write_b16 v6, v17 offset:2258
.LBB0_16:
	s_or_b32 exec_lo, exec_lo, s1
	v_add_nc_u32_e32 v0, 0, v19
	v_lshlrev_b32_e32 v6, 1, v8
	s_waitcnt lgkmcnt(0)
	s_barrier
	buffer_gl0_inv
	v_lshl_add_u32 v14, v10, 1, v0
	v_add_nc_u32_e32 v15, v0, v6
	v_add3_u32 v7, 0, v6, v19
	v_lshl_add_u32 v16, v12, 1, v0
	v_lshrrev_b32_e32 v34, 16, v1
	ds_read_u16 v21, v15
	ds_read_u16 v38, v7 offset:480
	ds_read_u16 v33, v7 offset:630
	;; [unrolled: 1-line block ×5, first 2 shown]
	ds_read_u16 v20, v16
	ds_read_u16 v37, v7 offset:1440
	ds_read_u16 v29, v7 offset:1260
	;; [unrolled: 1-line block ×4, first 2 shown]
	ds_read_u16 v26, v14
	ds_read_u16 v31, v7 offset:2220
	ds_read_u16 v39, v7 offset:1920
	ds_read_u16 v36, v7 offset:1740
	s_and_saveexec_b32 s1, s0
	s_cbranch_execz .LBB0_18
; %bb.17:
	ds_read_u16 v3, v7 offset:450
	ds_read_u16 v18, v7 offset:930
	;; [unrolled: 1-line block ×5, first 2 shown]
.LBB0_18:
	s_or_b32 exec_lo, exec_lo, s1
	v_pk_add_f16 v0, v55, v52
	v_pk_add_f16 v56, v56, v57 neg_lo:[0,1] neg_hi:[0,1]
	v_add_f16_e32 v61, v55, v51
	v_pk_add_f16 v57, v52, v52 op_sel:[0,1] op_sel_hi:[1,0] neg_lo:[0,1] neg_hi:[0,1]
	v_pk_add_f16 v63, v50, v46
	v_pk_fma_f16 v0, v0, 0.5, v51 op_sel_hi:[1,0,0] neg_lo:[1,0,0] neg_hi:[1,0,0]
	v_pk_add_f16 v51, v55, v55 op_sel:[0,1] op_sel_hi:[1,0] neg_lo:[0,1] neg_hi:[0,1]
	v_pk_add_f16 v53, v53, v54 neg_lo:[0,1] neg_hi:[0,1]
	v_add_f16_sdwa v54, v61, v55 dst_sel:DWORD dst_unused:UNUSED_PAD src0_sel:DWORD src1_sel:WORD_1
	v_add_f16_e32 v62, v50, v49
	v_pk_fma_f16 v64, 0x3b9c, v56, v0 op_sel_hi:[0,1,1]
	v_pk_fma_f16 v0, 0x3b9c, v56, v0 op_sel_hi:[0,1,1] neg_lo:[0,1,0] neg_hi:[0,1,0]
	v_pk_add_f16 v51, v51, v57
	v_pk_fma_f16 v49, v63, 0.5, v49 op_sel_hi:[1,0,0] neg_lo:[1,0,0] neg_hi:[1,0,0]
	v_add_f16_sdwa v54, v54, v52 dst_sel:DWORD dst_unused:UNUSED_PAD src0_sel:DWORD src1_sel:WORD_1
	v_add_f16_sdwa v57, v62, v50 dst_sel:DWORD dst_unused:UNUSED_PAD src0_sel:DWORD src1_sel:WORD_1
	v_alignbit_b32 v55, v0, v64, 16
	v_alignbit_b32 v0, v64, v0, 16
	v_pk_fma_f16 v61, 0x3b9c, v53, v49 op_sel_hi:[0,1,1]
	v_add_f16_e32 v52, v54, v52
	v_add_f16_e32 v54, v41, v45
	v_pk_fma_f16 v55, 0x38b4, v56, v55 op_sel_hi:[0,1,1]
	v_pk_fma_f16 v0, 0x38b4, v56, v0 op_sel_hi:[0,1,1] neg_lo:[0,1,0] neg_hi:[0,1,0]
	v_pk_fma_f16 v56, 0x3b9c, v53, v49 op_sel_hi:[0,1,1] neg_lo:[0,1,0] neg_hi:[0,1,0]
	v_pk_add_f16 v50, v50, v50 op_sel:[0,1] op_sel_hi:[1,0] neg_lo:[0,1] neg_hi:[0,1]
	v_pk_add_f16 v62, v46, v46 op_sel:[0,1] op_sel_hi:[1,0] neg_lo:[0,1] neg_hi:[0,1]
	v_pk_fma_f16 v49, 0x34f2, v51, v55 op_sel_hi:[0,1,1]
	v_pk_add_f16 v55, v41, v44
	v_pk_fma_f16 v51, 0x34f2, v51, v0 op_sel_hi:[0,1,1]
	v_alignbit_b32 v0, v56, v61, 16
	v_alignbit_b32 v56, v61, v56, 16
	v_add_f16_sdwa v54, v54, v41 dst_sel:DWORD dst_unused:UNUSED_PAD src0_sel:DWORD src1_sel:WORD_1
	v_pk_add_f16 v47, v47, v48 neg_lo:[0,1] neg_hi:[0,1]
	v_pk_fma_f16 v45, v55, 0.5, v45 op_sel_hi:[1,0,0] neg_lo:[1,0,0] neg_hi:[1,0,0]
	v_add_f16_sdwa v57, v57, v46 dst_sel:DWORD dst_unused:UNUSED_PAD src0_sel:DWORD src1_sel:WORD_1
	v_pk_fma_f16 v0, 0x38b4, v53, v0 op_sel_hi:[0,1,1]
	v_pk_add_f16 v48, v50, v62
	v_pk_fma_f16 v50, 0x38b4, v53, v56 op_sel_hi:[0,1,1] neg_lo:[0,1,0] neg_hi:[0,1,0]
	v_add_f16_sdwa v53, v54, v44 dst_sel:DWORD dst_unused:UNUSED_PAD src0_sel:DWORD src1_sel:WORD_1
	v_pk_fma_f16 v54, 0x3b9c, v47, v45 op_sel_hi:[0,1,1]
	v_pk_fma_f16 v55, 0x3b9c, v47, v45 op_sel_hi:[0,1,1] neg_lo:[0,1,0] neg_hi:[0,1,0]
	v_add_f16_e32 v56, v57, v46
	v_pk_fma_f16 v45, 0x34f2, v48, v0 op_sel_hi:[0,1,1]
	v_pk_fma_f16 v46, 0x34f2, v48, v50 op_sel_hi:[0,1,1]
	v_add_f16_e32 v53, v53, v44
	v_alignbit_b32 v0, v55, v54, 16
	v_add_f16_e32 v48, v23, v24
	v_pk_add_f16 v50, v41, v41 op_sel:[0,1] op_sel_hi:[1,0] neg_lo:[0,1] neg_hi:[0,1]
	v_pk_add_f16 v44, v44, v44 op_sel:[0,1] op_sel_hi:[1,0] neg_lo:[0,1] neg_hi:[0,1]
	v_alignbit_b32 v54, v54, v55, 16
	v_add_f16_e32 v55, v2, v22
	v_fma_f16 v41, -0.5, v48, v2
	v_sub_f16_e32 v48, v42, v43
	v_pk_add_f16 v43, v50, v44
	v_pk_fma_f16 v44, 0x38b4, v47, v54 op_sel_hi:[0,1,1] neg_lo:[0,1,0] neg_hi:[0,1,0]
	v_add_f16_e32 v54, v13, v22
	v_pk_fma_f16 v0, 0x38b4, v47, v0 op_sel_hi:[0,1,1]
	v_add_f16_e32 v50, v24, v55
	v_sub_f16_e32 v25, v25, v27
	v_fmamk_f16 v42, v48, 0x3b9c, v41
	v_fmac_f16_e32 v2, -0.5, v54
	v_pk_fma_f16 v47, 0x34f2, v43, v0 op_sel_hi:[0,1,1]
	v_pk_fma_f16 v27, 0x34f2, v43, v44 op_sel_hi:[0,1,1]
	v_add_f16_e32 v0, v23, v50
	v_sub_f16_e32 v44, v22, v24
	v_sub_f16_e32 v50, v13, v23
	v_fmac_f16_e32 v41, 0xbb9c, v48
	v_fmamk_f16 v43, v25, 0xbb9c, v2
	v_sub_f16_e32 v22, v24, v22
	v_sub_f16_e32 v23, v23, v13
	v_fmac_f16_e32 v2, 0x3b9c, v25
	v_fmac_f16_e32 v42, 0x38b4, v25
	v_add_f16_e32 v24, v50, v44
	v_fmac_f16_e32 v41, 0xb8b4, v25
	v_fmac_f16_e32 v43, 0x38b4, v48
	v_add_f16_e32 v22, v23, v22
	v_fmac_f16_e32 v2, 0xb8b4, v48
	v_add_f16_e32 v0, v13, v0
	v_fmac_f16_e32 v42, 0x34f2, v24
	v_fmac_f16_e32 v41, 0x34f2, v24
	;; [unrolled: 1-line block ×4, first 2 shown]
	v_add_nc_u32_e32 v13, 0xe1, v8
	v_alignbit_b32 v50, v51, v51, 16
	v_alignbit_b32 v46, v46, v46, 16
	;; [unrolled: 1-line block ×3, first 2 shown]
	s_waitcnt lgkmcnt(0)
	s_barrier
	buffer_gl0_inv
	ds_write_b16 v58, v52
	ds_write_b64 v58, v[49:50] offset:2
	ds_write_b16 v59, v56
	ds_write_b64 v59, v[45:46] offset:2
	;; [unrolled: 2-line block ×3, first 2 shown]
	s_and_saveexec_b32 s1, s0
	s_cbranch_execz .LBB0_20
; %bb.19:
	v_mul_u32_u24_e32 v24, 10, v13
	v_perm_b32 v23, v2, v43, 0x5040100
	v_perm_b32 v22, v42, v0, 0x5040100
	v_add3_u32 v24, 0, v24, v19
	ds_write_b64 v24, v[22:23]
	ds_write_b16 v24, v41 offset:8
.LBB0_20:
	s_or_b32 exec_lo, exec_lo, s1
	s_waitcnt lgkmcnt(0)
	s_barrier
	buffer_gl0_inv
	ds_read_u16 v23, v15
	ds_read_u16 v52, v7 offset:480
	ds_read_u16 v49, v7 offset:630
	;; [unrolled: 1-line block ×5, first 2 shown]
	ds_read_u16 v24, v16
	ds_read_u16 v53, v7 offset:1440
	ds_read_u16 v45, v7 offset:1260
	;; [unrolled: 1-line block ×4, first 2 shown]
	ds_read_u16 v25, v14
	ds_read_u16 v47, v7 offset:2220
	ds_read_u16 v54, v7 offset:1920
	;; [unrolled: 1-line block ×3, first 2 shown]
	s_and_saveexec_b32 s1, s0
	s_cbranch_execz .LBB0_22
; %bb.21:
	ds_read_u16 v0, v7 offset:450
	ds_read_u16 v42, v7 offset:930
	;; [unrolled: 1-line block ×5, first 2 shown]
.LBB0_22:
	s_or_b32 exec_lo, exec_lo, s1
	v_and_b32_e32 v22, 0xff, v8
	v_and_b32_e32 v56, 0xff, v10
	;; [unrolled: 1-line block ×3, first 2 shown]
	v_mov_b32_e32 v61, 0xcccd
	v_mov_b32_e32 v60, 4
	v_mul_lo_u16 v27, 0xcd, v22
	v_lshrrev_b16 v57, 10, v27
	v_mul_lo_u16 v27, 0xcd, v56
	v_mul_lo_u16 v56, v57, 5
	v_lshrrev_b16 v59, 10, v27
	v_mul_lo_u16 v27, 0xcd, v58
	v_and_b32_e32 v57, 0xffff, v57
	v_sub_nc_u16 v56, v8, v56
	v_mul_lo_u16 v58, v59, 5
	v_lshrrev_b16 v63, 10, v27
	v_mul_u32_u24_sdwa v27, v13, v61 dst_sel:DWORD dst_unused:UNUSED_PAD src0_sel:WORD_0 src1_sel:DWORD
	v_and_b32_e32 v59, 0xffff, v59
	v_lshlrev_b32_sdwa v62, v60, v56 dst_sel:DWORD dst_unused:UNUSED_PAD src0_sel:DWORD src1_sel:BYTE_0
	v_sub_nc_u16 v58, v10, v58
	v_mul_lo_u16 v61, v63, 5
	v_lshrrev_b32_e32 v27, 18, v27
	v_mad_u32_u24 v57, v57, 50, 0
	global_load_dwordx4 v[75:78], v62, s[8:9]
	v_lshlrev_b32_sdwa v62, v60, v58 dst_sel:DWORD dst_unused:UNUSED_PAD src0_sel:DWORD src1_sel:BYTE_0
	v_sub_nc_u16 v61, v12, v61
	v_mul_lo_u16 v27, v27, 5
	global_load_dwordx4 v[79:82], v62, s[8:9]
	v_lshlrev_b32_sdwa v62, v60, v61 dst_sel:DWORD dst_unused:UNUSED_PAD src0_sel:DWORD src1_sel:BYTE_0
	v_sub_nc_u16 v27, v13, v27
	global_load_dwordx4 v[83:86], v62, s[8:9]
	v_lshlrev_b32_sdwa v60, v60, v27 dst_sel:DWORD dst_unused:UNUSED_PAD src0_sel:DWORD src1_sel:WORD_0
	global_load_dwordx4 v[87:90], v60, s[8:9]
	v_and_b32_e32 v62, 0xffff, v63
	v_mov_b32_e32 v60, 1
	v_mad_u32_u24 v63, v59, 50, 0
	s_waitcnt vmcnt(0) lgkmcnt(0)
	s_barrier
	v_mad_u32_u24 v62, v62, 50, 0
	v_lshlrev_b32_sdwa v59, v60, v56 dst_sel:DWORD dst_unused:UNUSED_PAD src0_sel:DWORD src1_sel:BYTE_0
	v_lshlrev_b32_sdwa v61, v60, v61 dst_sel:DWORD dst_unused:UNUSED_PAD src0_sel:DWORD src1_sel:BYTE_0
	;; [unrolled: 1-line block ×3, first 2 shown]
	v_and_b32_e32 v56, 0xff, v13
	buffer_gl0_inv
	v_add3_u32 v59, v57, v59, v19
	v_add3_u32 v57, v62, v61, v19
	;; [unrolled: 1-line block ×3, first 2 shown]
	v_mul_f16_sdwa v71, v52, v75 dst_sel:DWORD dst_unused:UNUSED_PAD src0_sel:DWORD src1_sel:WORD_1
	v_mul_f16_sdwa v72, v55, v76 dst_sel:DWORD dst_unused:UNUSED_PAD src0_sel:DWORD src1_sel:WORD_1
	v_mul_f16_sdwa v91, v38, v75 dst_sel:DWORD dst_unused:UNUSED_PAD src0_sel:DWORD src1_sel:WORD_1
	v_mul_f16_sdwa v92, v40, v76 dst_sel:DWORD dst_unused:UNUSED_PAD src0_sel:DWORD src1_sel:WORD_1
	v_mul_f16_sdwa v73, v53, v77 dst_sel:DWORD dst_unused:UNUSED_PAD src0_sel:DWORD src1_sel:WORD_1
	v_mul_f16_sdwa v74, v54, v78 dst_sel:DWORD dst_unused:UNUSED_PAD src0_sel:DWORD src1_sel:WORD_1
	v_mul_f16_sdwa v69, v49, v79 dst_sel:DWORD dst_unused:UNUSED_PAD src0_sel:DWORD src1_sel:WORD_1
	v_fmac_f16_e32 v71, v38, v75
	v_fmac_f16_e32 v72, v40, v76
	v_mul_f16_sdwa v94, v39, v78 dst_sel:DWORD dst_unused:UNUSED_PAD src0_sel:DWORD src1_sel:WORD_1
	v_mul_f16_sdwa v95, v33, v79 dst_sel:DWORD dst_unused:UNUSED_PAD src0_sel:DWORD src1_sel:WORD_1
	;; [unrolled: 1-line block ×15, first 2 shown]
	v_fma_f16 v52, v52, v75, -v91
	v_mul_f16_sdwa v75, v34, v89 dst_sel:DWORD dst_unused:UNUSED_PAD src0_sel:DWORD src1_sel:WORD_1
	v_fma_f16 v55, v55, v76, -v92
	v_fmac_f16_e32 v73, v37, v77
	v_mul_f16_sdwa v76, v17, v90 dst_sel:DWORD dst_unused:UNUSED_PAD src0_sel:DWORD src1_sel:WORD_1
	v_fmac_f16_e32 v74, v39, v78
	v_fmac_f16_e32 v69, v33, v79
	;; [unrolled: 1-line block ×6, first 2 shown]
	v_mul_f16_sdwa v93, v37, v77 dst_sel:DWORD dst_unused:UNUSED_PAD src0_sel:DWORD src1_sel:WORD_1
	v_mul_f16_sdwa v96, v32, v80 dst_sel:DWORD dst_unused:UNUSED_PAD src0_sel:DWORD src1_sel:WORD_1
	;; [unrolled: 1-line block ×8, first 2 shown]
	v_fma_f16 v54, v54, v78, -v94
	v_fma_f16 v37, v49, v79, -v95
	v_fmac_f16_e32 v67, v32, v80
	v_fmac_f16_e32 v68, v30, v81
	;; [unrolled: 1-line block ×7, first 2 shown]
	v_fma_f16 v29, v42, v87, -v103
	v_fma_f16 v28, v43, v88, -v104
	;; [unrolled: 1-line block ×4, first 2 shown]
	v_add_f16_e32 v17, v21, v71
	v_add_f16_e32 v18, v72, v73
	v_sub_f16_e32 v36, v71, v72
	v_sub_f16_e32 v41, v74, v73
	v_add_f16_e32 v42, v71, v74
	v_add_f16_e32 v49, v26, v69
	;; [unrolled: 1-line block ×4, first 2 shown]
	v_fma_f16 v53, v53, v77, -v93
	v_fma_f16 v39, v48, v80, -v96
	;; [unrolled: 1-line block ×8, first 2 shown]
	v_sub_f16_e32 v43, v72, v71
	v_sub_f16_e32 v48, v73, v74
	v_add_f16_e32 v50, v67, v68
	v_sub_f16_e32 v76, v69, v67
	v_sub_f16_e32 v77, v70, v68
	v_add_f16_e32 v78, v69, v70
	;; [unrolled: 3-line block ×3, first 2 shown]
	v_add_f16_e32 v86, v65, v66
	v_sub_f16_e32 v87, v63, v65
	v_sub_f16_e32 v88, v64, v66
	v_sub_f16_e32 v89, v62, v61
	v_sub_f16_e32 v90, v40, v38
	v_sub_f16_e32 v34, v29, v1
	v_sub_f16_e32 v35, v28, v2
	v_add_f16_e32 v96, v36, v41
	v_fma_f16 v97, -0.5, v18, v21
	v_fmac_f16_e32 v21, -0.5, v42
	v_add_f16_e32 v17, v17, v72
	v_add_f16_e32 v18, v49, v67
	v_fma_f16 v41, -0.5, v94, v3
	v_fma_f16 v42, -0.5, v95, v3
	v_sub_f16_e32 v45, v52, v54
	v_add_f16_e32 v81, v20, v65
	v_sub_f16_e32 v47, v55, v53
	v_sub_f16_e32 v51, v37, v44
	;; [unrolled: 1-line block ×9, first 2 shown]
	v_add_f16_e32 v48, v43, v48
	v_add_f16_e32 v76, v76, v77
	v_fma_f16 v50, -0.5, v50, v26
	v_fmac_f16_e32 v26, -0.5, v78
	v_add_f16_e32 v77, v79, v80
	v_fma_f16 v79, -0.5, v82, v20
	v_fmac_f16_e32 v20, -0.5, v86
	v_add_f16_e32 v80, v87, v88
	v_add_f16_e32 v43, v89, v90
	;; [unrolled: 1-line block ×4, first 2 shown]
	v_fmamk_f16 v17, v34, 0xbb9c, v41
	v_fmamk_f16 v18, v35, 0x3b9c, v42
	v_add_f16_e32 v49, v81, v63
	v_fmamk_f16 v81, v45, 0xbb9c, v97
	v_fmamk_f16 v82, v47, 0x3b9c, v21
	v_fmac_f16_e32 v21, 0xbb9c, v47
	v_fmac_f16_e32 v97, 0x3b9c, v45
	v_add_f16_e32 v78, v84, v85
	v_add_f16_e32 v36, v91, v92
	v_fmamk_f16 v84, v51, 0xbb9c, v50
	v_fmac_f16_e32 v50, 0x3b9c, v51
	v_fmamk_f16 v85, v75, 0x3b9c, v26
	v_fmac_f16_e32 v26, 0xbb9c, v75
	;; [unrolled: 2-line block ×4, first 2 shown]
	v_fmac_f16_e32 v17, 0xb8b4, v35
	v_fmac_f16_e32 v18, 0xb8b4, v34
	;; [unrolled: 1-line block ×6, first 2 shown]
	v_add_f16_e32 v49, v49, v64
	v_fmac_f16_e32 v84, 0xb8b4, v75
	v_fmac_f16_e32 v50, 0x38b4, v75
	;; [unrolled: 1-line block ×8, first 2 shown]
	v_add_f16_e32 v45, v88, v74
	v_fmac_f16_e32 v17, 0x34f2, v43
	v_fmac_f16_e32 v18, 0x34f2, v36
	;; [unrolled: 1-line block ×6, first 2 shown]
	v_add_f16_e32 v47, v89, v70
	v_add_f16_e32 v49, v49, v66
	v_fmac_f16_e32 v84, 0x34f2, v76
	v_fmac_f16_e32 v50, 0x34f2, v76
	;; [unrolled: 1-line block ×8, first 2 shown]
	ds_write_b16 v59, v45
	ds_write_b16 v59, v81 offset:10
	ds_write_b16 v59, v82 offset:20
	ds_write_b16 v59, v21 offset:30
	ds_write_b16 v59, v97 offset:40
	ds_write_b16 v58, v47
	ds_write_b16 v58, v84 offset:10
	ds_write_b16 v58, v85 offset:20
	ds_write_b16 v58, v26 offset:30
	ds_write_b16 v58, v50 offset:40
	;; [unrolled: 5-line block ×3, first 2 shown]
	s_and_saveexec_b32 s1, s0
	s_cbranch_execz .LBB0_24
; %bb.23:
	v_mul_lo_u16 v20, 0xcd, v56
	v_add_f16_e32 v3, v3, v62
	v_mul_f16_e32 v26, 0x38b4, v35
	v_mul_f16_e32 v35, 0x3b9c, v35
	v_mul_f16_e32 v21, 0x3b9c, v34
	v_lshrrev_b16 v20, 10, v20
	v_add_f16_e32 v3, v3, v61
	v_mul_f16_e32 v34, 0x38b4, v34
	v_sub_f16_e32 v35, v42, v35
	v_add_f16_e32 v21, v41, v21
	v_and_b32_e32 v20, 0xffff, v20
	v_lshlrev_b32_sdwa v45, v60, v27 dst_sel:DWORD dst_unused:UNUSED_PAD src0_sel:DWORD src1_sel:WORD_0
	v_add_f16_e32 v3, v3, v38
	v_mul_f16_e32 v36, 0x34f2, v36
	v_add_f16_e32 v34, v34, v35
	v_mad_u32_u24 v20, v20, 50, 0
	v_mul_f16_e32 v43, 0x34f2, v43
	v_add_f16_e32 v21, v26, v21
	v_add_f16_e32 v3, v3, v40
	v_add_f16_e32 v26, v36, v34
	v_add3_u32 v20, v20, v45, v19
	v_add_f16_e32 v21, v43, v21
	ds_write_b16 v20, v3
	ds_write_b16 v20, v17 offset:10
	ds_write_b16 v20, v18 offset:20
	;; [unrolled: 1-line block ×4, first 2 shown]
.LBB0_24:
	s_or_b32 exec_lo, exec_lo, s1
	v_add_f16_e32 v3, v55, v53
	v_add_f16_e32 v20, v23, v52
	v_sub_f16_e32 v21, v71, v74
	v_sub_f16_e32 v26, v72, v73
	;; [unrolled: 1-line block ×3, first 2 shown]
	v_fma_f16 v50, -0.5, v3, v23
	v_sub_f16_e32 v3, v52, v55
	v_add_f16_e32 v35, v52, v54
	v_add_f16_e32 v20, v20, v55
	v_sub_f16_e32 v36, v44, v46
	v_fmamk_f16 v51, v21, 0x3b9c, v50
	v_fmac_f16_e32 v50, 0xbb9c, v21
	v_add_f16_e32 v3, v3, v34
	v_fmac_f16_e32 v23, -0.5, v35
	v_add_f16_e32 v20, v20, v53
	v_fmac_f16_e32 v51, 0x38b4, v26
	v_fmac_f16_e32 v50, 0xb8b4, v26
	v_add_f16_e32 v35, v25, v37
	v_fmamk_f16 v60, v26, 0xbb9c, v23
	v_add_f16_e32 v71, v20, v54
	v_fmac_f16_e32 v51, 0x34f2, v3
	v_fmac_f16_e32 v50, 0x34f2, v3
	v_sub_f16_e32 v3, v55, v52
	v_sub_f16_e32 v20, v53, v54
	v_fmac_f16_e32 v23, 0x3b9c, v26
	v_add_f16_e32 v34, v39, v46
	v_fmac_f16_e32 v60, 0x38b4, v21
	v_sub_f16_e32 v26, v67, v68
	v_add_f16_e32 v3, v3, v20
	v_add_f16_e32 v20, v35, v39
	v_fmac_f16_e32 v23, 0xb8b4, v21
	v_add_f16_e32 v21, v37, v44
	v_fma_f16 v52, -0.5, v34, v25
	v_sub_f16_e32 v34, v69, v70
	v_add_f16_e32 v20, v20, v46
	v_fmac_f16_e32 v60, 0x34f2, v3
	v_fmac_f16_e32 v25, -0.5, v21
	v_fmac_f16_e32 v23, 0x34f2, v3
	v_sub_f16_e32 v3, v39, v37
	v_add_f16_e32 v54, v20, v44
	v_sub_f16_e32 v20, v46, v44
	v_fmamk_f16 v55, v26, 0xbb9c, v25
	v_fmac_f16_e32 v25, 0x3b9c, v26
	v_add_f16_e32 v21, v32, v33
	v_fmamk_f16 v53, v34, 0x3b9c, v52
	v_add_f16_e32 v3, v3, v20
	v_fmac_f16_e32 v55, 0x38b4, v34
	v_fmac_f16_e32 v25, 0xb8b4, v34
	v_add_f16_e32 v20, v24, v30
	v_sub_f16_e32 v35, v37, v39
	v_fmac_f16_e32 v52, 0xbb9c, v34
	v_fma_f16 v67, -0.5, v21, v24
	v_sub_f16_e32 v21, v65, v66
	v_fmac_f16_e32 v55, 0x34f2, v3
	v_fmac_f16_e32 v25, 0x34f2, v3
	v_add_f16_e32 v3, v20, v32
	v_add_f16_e32 v20, v30, v31
	v_fmac_f16_e32 v53, 0x38b4, v26
	v_add_f16_e32 v35, v35, v36
	v_fmac_f16_e32 v52, 0xb8b4, v26
	v_fmamk_f16 v65, v21, 0x3b9c, v67
	v_sub_f16_e32 v26, v63, v64
	v_fmac_f16_e32 v67, 0xbb9c, v21
	v_fmac_f16_e32 v24, -0.5, v20
	v_add_f16_e32 v3, v3, v33
	v_fmac_f16_e32 v53, 0x34f2, v35
	v_fmac_f16_e32 v52, 0x34f2, v35
	v_sub_f16_e32 v34, v30, v32
	v_sub_f16_e32 v35, v31, v33
	v_fmac_f16_e32 v65, 0x38b4, v26
	v_fmac_f16_e32 v67, 0xb8b4, v26
	v_fmamk_f16 v63, v26, 0xbb9c, v24
	v_add_f16_e32 v64, v3, v31
	v_sub_f16_e32 v30, v32, v30
	v_sub_f16_e32 v31, v33, v31
	v_fmac_f16_e32 v24, 0x3b9c, v26
	v_add_f16_e32 v26, v29, v1
	v_add_f16_e32 v20, v34, v35
	;; [unrolled: 1-line block ×3, first 2 shown]
	v_fmac_f16_e32 v63, 0x38b4, v21
	v_sub_f16_e32 v32, v29, v28
	v_sub_f16_e32 v33, v1, v2
	v_fma_f16 v46, -0.5, v26, v0
	v_add_f16_e32 v26, v30, v31
	v_fmac_f16_e32 v24, 0xb8b4, v21
	v_sub_f16_e32 v30, v28, v29
	v_sub_f16_e32 v31, v2, v1
	v_fma_f16 v3, -0.5, v34, v0
	v_sub_f16_e32 v45, v62, v40
	v_sub_f16_e32 v47, v61, v38
	v_add_f16_e32 v49, v32, v33
	v_fmac_f16_e32 v63, 0x34f2, v26
	v_fmac_f16_e32 v24, 0x34f2, v26
	v_add_f16_e32 v48, v30, v31
	s_waitcnt lgkmcnt(0)
	s_barrier
	buffer_gl0_inv
	ds_read_u16 v42, v16
	ds_read_u16 v26, v15
	ds_read_u16 v43, v7 offset:450
	ds_read_u16 v41, v7 offset:600
	;; [unrolled: 1-line block ×12, first 2 shown]
	ds_read_u16 v44, v14
	ds_read_u16 v31, v7 offset:2250
	v_fmac_f16_e32 v65, 0x34f2, v20
	v_fmac_f16_e32 v67, 0x34f2, v20
	v_fmamk_f16 v20, v45, 0x3b9c, v3
	v_fmamk_f16 v21, v47, 0xbb9c, v46
	s_waitcnt lgkmcnt(0)
	s_barrier
	buffer_gl0_inv
	v_fmac_f16_e32 v20, 0x38b4, v47
	v_fmac_f16_e32 v21, 0x38b4, v45
	ds_write_b16 v59, v71
	ds_write_b16 v59, v51 offset:10
	ds_write_b16 v59, v60 offset:20
	ds_write_b16 v59, v23 offset:30
	ds_write_b16 v59, v50 offset:40
	ds_write_b16 v58, v54
	ds_write_b16 v58, v53 offset:10
	ds_write_b16 v58, v55 offset:20
	ds_write_b16 v58, v25 offset:30
	ds_write_b16 v58, v52 offset:40
	;; [unrolled: 5-line block ×3, first 2 shown]
	v_fmac_f16_e32 v20, 0x34f2, v49
	v_fmac_f16_e32 v21, 0x34f2, v48
	s_and_saveexec_b32 s1, s0
	s_cbranch_execz .LBB0_26
; %bb.25:
	v_mul_lo_u16 v23, 0xcd, v56
	v_add_f16_e32 v0, v0, v29
	v_mul_f16_e32 v24, 0x3b9c, v45
	v_mul_f16_e32 v29, 0x3b9c, v47
	;; [unrolled: 1-line block ×3, first 2 shown]
	v_lshrrev_b16 v23, 10, v23
	v_mov_b32_e32 v47, 1
	v_add_f16_e32 v0, v0, v28
	v_mul_f16_e32 v45, 0x38b4, v45
	v_sub_f16_e32 v3, v3, v24
	v_and_b32_e32 v23, 0xffff, v23
	v_add_f16_e32 v24, v29, v46
	v_lshlrev_b32_sdwa v27, v47, v27 dst_sel:DWORD dst_unused:UNUSED_PAD src0_sel:DWORD src1_sel:WORD_0
	v_add_f16_e32 v0, v0, v2
	v_mul_f16_e32 v49, 0x34f2, v49
	v_mad_u32_u24 v2, v23, 50, 0
	v_mul_f16_e32 v23, 0x34f2, v48
	v_sub_f16_e32 v24, v24, v45
	v_sub_f16_e32 v3, v3, v25
	v_add_f16_e32 v0, v0, v1
	v_add3_u32 v1, v2, v27, v19
	v_add_f16_e32 v2, v23, v24
	v_add_f16_e32 v3, v49, v3
	ds_write_b16 v1, v0
	ds_write_b16 v1, v20 offset:10
	ds_write_b16 v1, v21 offset:20
	;; [unrolled: 1-line block ×4, first 2 shown]
.LBB0_26:
	s_or_b32 exec_lo, exec_lo, s1
	v_mul_lo_u16 v0, v22, 41
	v_mov_b32_e32 v1, 15
	s_waitcnt lgkmcnt(0)
	s_barrier
	buffer_gl0_inv
	v_lshrrev_b16 v45, 10, v0
	v_mov_b32_e32 v55, 1
	v_cmp_gt_u32_e64 s0, 25, v8
	v_mul_lo_u16 v0, v45, 25
	v_and_b32_e32 v45, 0xffff, v45
	v_sub_nc_u16 v52, v8, v0
	v_mad_u32_u24 v45, 0x320, v45, 0
	v_mul_u32_u24_sdwa v0, v52, v1 dst_sel:DWORD dst_unused:UNUSED_PAD src0_sel:BYTE_0 src1_sel:DWORD
	v_lshlrev_b32_sdwa v52, v55, v52 dst_sel:DWORD dst_unused:UNUSED_PAD src0_sel:DWORD src1_sel:BYTE_0
	v_lshlrev_b32_e32 v27, 2, v0
	v_add3_u32 v45, v45, v52, v19
	s_clause 0x3
	global_load_dwordx4 v[22:25], v27, s[8:9] offset:80
	global_load_dwordx4 v[0:3], v27, s[8:9] offset:96
	;; [unrolled: 1-line block ×3, first 2 shown]
	global_load_dwordx3 v[27:29], v27, s[8:9] offset:128
	ds_read_u16 v53, v14
	ds_read_u16 v54, v16
	;; [unrolled: 1-line block ×3, first 2 shown]
	ds_read_u16 v56, v7 offset:450
	ds_read_u16 v57, v7 offset:600
	;; [unrolled: 1-line block ×13, first 2 shown]
	s_waitcnt vmcnt(0) lgkmcnt(0)
	s_barrier
	buffer_gl0_inv
	v_mul_f16_sdwa v19, v53, v22 dst_sel:DWORD dst_unused:UNUSED_PAD src0_sel:DWORD src1_sel:WORD_1
	v_mul_f16_sdwa v67, v54, v23 dst_sel:DWORD dst_unused:UNUSED_PAD src0_sel:DWORD src1_sel:WORD_1
	;; [unrolled: 1-line block ×29, first 2 shown]
	v_fmac_f16_e32 v19, v44, v22
	v_fmac_f16_e32 v67, v42, v23
	v_fma_f16 v23, v54, v23, -v68
	v_fmac_f16_e32 v69, v43, v24
	v_fmac_f16_e32 v71, v41, v25
	v_fma_f16 v41, v57, v25, -v72
	v_fmac_f16_e32 v73, v40, v0
	v_fma_f16 v0, v58, v0, -v74
	;; [unrolled: 2-line block ×4, first 2 shown]
	v_fmac_f16_e32 v79, v36, v3
	v_fmac_f16_e32 v80, v37, v48
	;; [unrolled: 1-line block ×3, first 2 shown]
	v_fma_f16 v35, v55, v49, -v83
	v_fmac_f16_e32 v84, v34, v50
	v_fmac_f16_e32 v86, v33, v51
	v_fma_f16 v33, v63, v51, -v87
	v_fmac_f16_e32 v88, v32, v27
	v_fma_f16 v27, v64, v27, -v89
	;; [unrolled: 2-line block ×4, first 2 shown]
	v_fma_f16 v22, v53, v22, -v52
	v_fma_f16 v25, v61, v48, -v81
	;; [unrolled: 1-line block ×4, first 2 shown]
	v_sub_f16_e32 v30, v26, v79
	v_sub_f16_e32 v42, v41, v33
	;; [unrolled: 1-line block ×15, first 2 shown]
	v_fma_f16 v49, v23, 2.0, -v32
	v_fma_f16 v48, v1, 2.0, -v28
	;; [unrolled: 1-line block ×4, first 2 shown]
	v_add_f16_e32 v54, v30, v42
	v_add_f16_e32 v55, v31, v28
	v_sub_f16_e32 v56, v32, v33
	v_add_f16_e32 v27, v35, v27
	v_add_f16_e32 v29, v38, v29
	v_fma_f16 v26, v26, 2.0, -v30
	v_fma_f16 v43, v71, 2.0, -v39
	;; [unrolled: 1-line block ×10, first 2 shown]
	v_sub_f16_e32 v28, v25, v37
	v_sub_f16_e32 v33, v34, v40
	v_fma_f16 v30, v30, 2.0, -v54
	v_sub_f16_e32 v52, v49, v48
	v_fma_f16 v57, v31, 2.0, -v55
	v_fma_f16 v59, v32, 2.0, -v56
	;; [unrolled: 1-line block ×4, first 2 shown]
	v_sub_f16_e32 v43, v26, v43
	v_sub_f16_e32 v1, v44, v23
	;; [unrolled: 1-line block ×5, first 2 shown]
	v_fma_f16 v25, v25, 2.0, -v28
	v_sub_f16_e32 v2, v24, v2
	v_fma_f16 v34, v34, 2.0, -v33
	v_fmamk_f16 v58, v55, 0x39a8, v54
	v_fmamk_f16 v0, v29, 0x39a8, v27
	v_fmamk_f16 v60, v57, 0xb9a8, v30
	v_fmamk_f16 v37, v48, 0xb9a8, v32
	v_fmamk_f16 v38, v33, 0x39a8, v28
	v_fma_f16 v26, v26, 2.0, -v43
	v_fma_f16 v44, v44, 2.0, -v1
	;; [unrolled: 1-line block ×5, first 2 shown]
	v_add_f16_e32 v61, v43, v52
	v_fmamk_f16 v40, v34, 0xb9a8, v25
	v_add_f16_e32 v63, v23, v2
	v_fmac_f16_e32 v58, 0x39a8, v56
	v_fmac_f16_e32 v0, 0x39a8, v33
	v_fma_f16 v24, v24, 2.0, -v2
	v_fmac_f16_e32 v60, 0x39a8, v59
	v_fmac_f16_e32 v37, 0x39a8, v34
	;; [unrolled: 1-line block ×3, first 2 shown]
	v_sub_f16_e32 v29, v26, v44
	v_sub_f16_e32 v44, v19, v22
	;; [unrolled: 1-line block ×3, first 2 shown]
	v_fma_f16 v33, v43, 2.0, -v61
	v_fmac_f16_e32 v40, 0xb9a8, v48
	v_fma_f16 v65, v23, 2.0, -v63
	v_fma_f16 v35, v54, 2.0, -v58
	;; [unrolled: 1-line block ×3, first 2 shown]
	v_sub_f16_e32 v54, v53, v24
	v_fma_f16 v24, v30, 2.0, -v60
	v_fma_f16 v48, v32, 2.0, -v37
	v_fmamk_f16 v22, v63, 0x39a8, v61
	v_fma_f16 v23, v26, 2.0, -v29
	v_fma_f16 v19, v19, 2.0, -v44
	v_fma_f16 v66, v31, 2.0, -v64
	v_fmamk_f16 v2, v0, 0x3b64, v58
	v_fma_f16 v51, v25, 2.0, -v40
	v_fmamk_f16 v25, v65, 0xb9a8, v33
	v_fma_f16 v50, v28, 2.0, -v38
	v_fmamk_f16 v26, v43, 0xb61f, v35
	v_fmamk_f16 v28, v37, 0x361f, v60
	v_add_f16_e32 v27, v29, v54
	v_fmamk_f16 v30, v48, 0xbb64, v24
	v_fmac_f16_e32 v22, 0x39a8, v64
	v_sub_f16_e32 v19, v23, v19
	v_fmac_f16_e32 v2, 0x361f, v38
	v_fmac_f16_e32 v25, 0x39a8, v66
	;; [unrolled: 1-line block ×4, first 2 shown]
	v_fma_f16 v29, v29, 2.0, -v27
	v_fmac_f16_e32 v30, 0x361f, v51
	v_fma_f16 v31, v61, 2.0, -v22
	ds_write_b16 v45, v27 offset:600
	ds_write_b16 v45, v22 offset:700
	;; [unrolled: 1-line block ×3, first 2 shown]
	v_fma_f16 v22, v23, 2.0, -v19
	v_fma_f16 v32, v58, 2.0, -v2
	;; [unrolled: 1-line block ×5, first 2 shown]
	ds_write_b16 v45, v29 offset:200
	ds_write_b16 v45, v31 offset:300
	;; [unrolled: 1-line block ×7, first 2 shown]
	v_fma_f16 v19, v24, 2.0, -v30
	ds_write_b16 v45, v22
	ds_write_b16 v45, v23 offset:100
	ds_write_b16 v45, v27 offset:150
	;; [unrolled: 1-line block ×5, first 2 shown]
	s_waitcnt lgkmcnt(0)
	s_barrier
	buffer_gl0_inv
	ds_read_u16 v22, v16
	ds_read_u16 v26, v15
	ds_read_u16 v25, v7 offset:450
	ds_read_u16 v32, v7 offset:1600
	;; [unrolled: 1-line block ×11, first 2 shown]
	ds_read_u16 v19, v14
	ds_read_u16 v35, v7 offset:2200
	v_mul_f16_e32 v58, 0x39a8, v57
	v_mul_f16_e32 v61, 0x39a8, v59
	;; [unrolled: 1-line block ×8, first 2 shown]
	s_and_saveexec_b32 s1, s0
	s_cbranch_execz .LBB0_28
; %bb.27:
	ds_read_u16 v2, v7 offset:750
	ds_read_u16 v17, v7 offset:1550
	;; [unrolled: 1-line block ×3, first 2 shown]
.LBB0_28:
	s_or_b32 exec_lo, exec_lo, s1
	v_mul_f16_sdwa v36, v36, v3 dst_sel:DWORD dst_unused:UNUSED_PAD src0_sel:DWORD src1_sel:WORD_1
	s_waitcnt lgkmcnt(0)
	s_barrier
	buffer_gl0_inv
	v_fma_f16 v3, v47, v3, -v36
	v_fma_f16 v36, v41, 2.0, -v42
	v_fma_f16 v42, v49, 2.0, -v52
	v_sub_f16_e32 v3, v46, v3
	v_fma_f16 v41, v46, 2.0, -v3
	v_sub_f16_e32 v39, v3, v39
	v_fma_f16 v46, v53, 2.0, -v54
	v_sub_f16_e32 v36, v41, v36
	v_fma_f16 v47, v3, 2.0, -v39
	v_add_f16_e32 v3, v39, v62
	v_fma_f16 v41, v41, 2.0, -v36
	v_sub_f16_e32 v49, v47, v61
	v_sub_f16_e32 v1, v36, v1
	v_sub_f16_e32 v52, v3, v60
	v_sub_f16_e32 v42, v41, v42
	v_sub_f16_e32 v49, v49, v58
	v_fma_f16 v36, v36, 2.0, -v1
	v_fma_f16 v39, v39, 2.0, -v52
	v_fmamk_f16 v3, v38, 0x3b64, v52
	v_fma_f16 v38, v41, 2.0, -v42
	v_fma_f16 v41, v47, 2.0, -v49
	v_add_f16_e32 v53, v1, v59
	v_sub_f16_e32 v47, v36, v57
	v_fmamk_f16 v50, v50, 0xb61f, v39
	v_fmamk_f16 v40, v40, 0x361f, v49
	v_sub_f16_e32 v44, v42, v44
	v_fmac_f16_e32 v3, 0xb61f, v0
	v_sub_f16_e32 v0, v38, v46
	v_fmamk_f16 v46, v51, 0xbb64, v41
	v_sub_f16_e32 v53, v53, v56
	v_sub_f16_e32 v47, v47, v55
	v_fmac_f16_e32 v50, 0xbb64, v43
	v_fmac_f16_e32 v40, 0xbb64, v37
	v_fma_f16 v42, v42, 2.0, -v44
	v_fma_f16 v38, v38, 2.0, -v0
	v_fmac_f16_e32 v46, 0xb61f, v48
	v_fma_f16 v1, v1, 2.0, -v53
	v_fma_f16 v36, v36, 2.0, -v47
	;; [unrolled: 1-line block ×5, first 2 shown]
	ds_write_b16 v45, v42 offset:200
	ds_write_b16 v45, v1 offset:300
	;; [unrolled: 1-line block ×4, first 2 shown]
	v_fma_f16 v0, v41, 2.0, -v46
	ds_write_b16 v45, v38
	ds_write_b16 v45, v36 offset:100
	ds_write_b16 v45, v39 offset:150
	;; [unrolled: 1-line block ×11, first 2 shown]
	s_waitcnt lgkmcnt(0)
	s_barrier
	buffer_gl0_inv
	ds_read_u16 v16, v16
	ds_read_u16 v38, v15
	ds_read_u16 v37, v7 offset:450
	ds_read_u16 v44, v7 offset:1600
	ds_read_u16 v15, v7 offset:1750
	ds_read_u16 v39, v7 offset:1900
	ds_read_u16 v42, v7 offset:2050
	ds_read_u16 v36, v7 offset:950
	ds_read_u16 v40, v7 offset:1100
	ds_read_u16 v43, v7 offset:1250
	ds_read_u16 v46, v7 offset:1400
	ds_read_u16 v45, v7 offset:800
	ds_read_u16 v41, v7 offset:600
	ds_read_u16 v14, v14
	ds_read_u16 v47, v7 offset:2200
	s_and_saveexec_b32 s1, s0
	s_cbranch_execz .LBB0_30
; %bb.29:
	ds_read_u16 v3, v7 offset:750
	ds_read_u16 v20, v7 offset:1550
	;; [unrolled: 1-line block ×3, first 2 shown]
.LBB0_30:
	s_or_b32 exec_lo, exec_lo, s1
	s_and_saveexec_b32 s1, vcc_lo
	s_cbranch_execz .LBB0_33
; %bb.31:
	v_add_nc_u32_e32 v76, 0x12c, v8
	v_mov_b32_e32 v1, 0
	v_add_nc_u32_e32 v71, 0x320, v8
	v_mad_u64_u32 v[58:59], null, s2, v11, 0
	v_lshlrev_b32_e32 v0, 1, v76
	v_mov_b32_e32 v7, v1
	v_mul_hi_u32 v68, 0x51eb851f, v13
	v_mad_u64_u32 v[62:63], null, s2, v71, 0
	v_lshlrev_b64 v[48:49], 2, v[0:1]
	v_lshlrev_b32_e32 v0, 1, v13
	v_lshlrev_b64 v[6:7], 2, v[6:7]
	v_mad_u64_u32 v[56:57], null, s2, v8, 0
	v_add_nc_u32_e32 v70, 0x190, v8
	v_add_co_u32 v48, vcc_lo, s8, v48
	v_lshlrev_b64 v[50:51], 2, v[0:1]
	v_lshlrev_b32_e32 v0, 1, v12
	v_add_co_ci_u32_e32 v49, vcc_lo, s9, v49, vcc_lo
	v_add_co_u32 v6, vcc_lo, s8, v6
	v_add_co_ci_u32_e32 v7, vcc_lo, s9, v7, vcc_lo
	v_lshlrev_b64 v[52:53], 2, v[0:1]
	v_lshlrev_b32_e32 v0, 1, v10
	v_add_co_u32 v50, vcc_lo, s8, v50
	v_add_co_ci_u32_e32 v51, vcc_lo, s9, v51, vcc_lo
	s_clause 0x1
	global_load_dwordx2 v[48:49], v[48:49], off offset:1580
	global_load_dwordx2 v[6:7], v[6:7], off offset:1580
	v_lshlrev_b64 v[54:55], 2, v[0:1]
	v_add_co_u32 v52, vcc_lo, s8, v52
	global_load_dwordx2 v[50:51], v[50:51], off offset:1580
	v_add_co_ci_u32_e32 v53, vcc_lo, s9, v53, vcc_lo
	v_add_co_u32 v54, vcc_lo, s8, v54
	v_add_co_ci_u32_e32 v55, vcc_lo, s9, v55, vcc_lo
	global_load_dwordx2 v[52:53], v[52:53], off offset:1580
	v_mul_hi_u32 v12, 0x51eb851f, v9
	v_add_nc_u32_e32 v72, 0x1db, v8
	global_load_dwordx2 v[54:55], v[54:55], off offset:1580
	v_add_nc_u32_e32 v73, 0x36b, v8
	v_mad_u64_u32 v[60:61], null, s2, v70, 0
	v_mad_u64_u32 v[64:65], null, s2, v72, 0
	v_mov_b32_e32 v10, v59
	v_lshrrev_b32_e32 v59, 7, v12
	v_lshrrev_b32_e32 v75, 7, v68
	v_mov_b32_e32 v12, v63
	v_mad_u64_u32 v[66:67], null, s2, v73, 0
	v_mov_b32_e32 v0, v57
	v_mul_hi_u32 v74, 0x51eb851f, v76
	v_mad_u32_u24 v85, 0x320, v75, v13
	v_mad_u64_u32 v[12:13], null, s3, v71, v[12:13]
	v_mad_u64_u32 v[68:69], null, s3, v8, v[0:1]
	v_mov_b32_e32 v0, v61
	v_mad_u64_u32 v[10:11], null, s3, v11, v[10:11]
	v_mov_b32_e32 v11, v65
	v_mov_b32_e32 v57, v67
	v_mad_u32_u24 v84, 0x320, v59, v9
	v_lshrrev_b32_e32 v9, 7, v74
	v_mad_u64_u32 v[69:70], null, s3, v70, v[0:1]
	v_mad_u64_u32 v[70:71], null, s3, v72, v[11:12]
	;; [unrolled: 1-line block ×4, first 2 shown]
	v_add_nc_u32_e32 v86, 0x190, v84
	v_mov_b32_e32 v57, v68
	v_add_nc_u32_e32 v87, 0x320, v84
	v_mad_u32_u24 v90, 0x320, v9, v76
	v_mad_u64_u32 v[74:75], null, s2, v85, 0
	v_add_nc_u32_e32 v88, 0x190, v85
	v_add_nc_u32_e32 v89, 0x320, v85
	v_mov_b32_e32 v59, v10
	v_mad_u64_u32 v[9:10], null, s2, v86, 0
	v_lshlrev_b64 v[56:57], 2, v[56:57]
	v_add_co_u32 v4, vcc_lo, s12, v4
	v_mad_u64_u32 v[76:77], null, s2, v87, 0
	v_add_nc_u32_e32 v91, 0x190, v90
	v_mad_u64_u32 v[78:79], null, s2, v88, 0
	v_add_nc_u32_e32 v92, 0x320, v90
	v_add_co_ci_u32_e32 v5, vcc_lo, s13, v5, vcc_lo
	v_mad_u64_u32 v[80:81], null, s2, v89, 0
	v_mov_b32_e32 v63, v12
	v_lshlrev_b64 v[11:12], 2, v[58:59]
	v_mov_b32_e32 v0, v73
	v_mad_u64_u32 v[82:83], null, s2, v90, 0
	v_mov_b32_e32 v61, v69
	v_mov_b32_e32 v13, v75
	v_mad_u64_u32 v[58:59], null, s2, v91, 0
	v_add_co_u32 v56, vcc_lo, v4, v56
	v_mad_u64_u32 v[68:69], null, s2, v92, 0
	v_mov_b32_e32 v65, v70
	v_mov_b32_e32 v67, v71
	v_mad_u64_u32 v[70:71], null, s3, v84, v[0:1]
	v_mov_b32_e32 v0, v10
	v_add_co_ci_u32_e32 v57, vcc_lo, v5, v57, vcc_lo
	v_mov_b32_e32 v10, v77
	v_add_co_u32 v11, vcc_lo, v4, v11
	v_lshlrev_b64 v[60:61], 2, v[60:61]
	s_waitcnt lgkmcnt(1)
	v_mad_u64_u32 v[84:85], null, s3, v85, v[13:14]
	v_mov_b32_e32 v13, v79
	v_mov_b32_e32 v71, v81
	v_mov_b32_e32 v73, v83
	v_lshlrev_b64 v[62:63], 2, v[62:63]
	v_mad_u64_u32 v[85:86], null, s3, v86, v[0:1]
	v_mad_u64_u32 v[86:87], null, s3, v87, v[10:11]
	v_mov_b32_e32 v0, v59
	v_add_co_ci_u32_e32 v12, vcc_lo, v5, v12, vcc_lo
	v_mad_u64_u32 v[87:88], null, s3, v88, v[13:14]
	v_mov_b32_e32 v10, v69
	v_lshlrev_b64 v[64:65], 2, v[64:65]
	v_mad_u64_u32 v[88:89], null, s3, v89, v[71:72]
	v_add_co_u32 v60, vcc_lo, v4, v60
	v_mad_u64_u32 v[89:90], null, s3, v90, v[73:74]
	v_mov_b32_e32 v73, v70
	v_add_co_ci_u32_e32 v61, vcc_lo, v5, v61, vcc_lo
	v_lshlrev_b64 v[66:67], 2, v[66:67]
	v_add_co_u32 v62, vcc_lo, v4, v62
	v_mad_u64_u32 v[69:70], null, s3, v91, v[0:1]
	v_mov_b32_e32 v75, v84
	v_mad_u64_u32 v[70:71], null, s3, v92, v[10:11]
	v_add_co_ci_u32_e32 v63, vcc_lo, v5, v63, vcc_lo
	v_add_co_u32 v64, vcc_lo, v4, v64
	v_lshlrev_b64 v[71:72], 2, v[72:73]
	v_mov_b32_e32 v10, v85
	v_add_co_ci_u32_e32 v65, vcc_lo, v5, v65, vcc_lo
	v_add_co_u32 v66, vcc_lo, v4, v66
	v_lshlrev_b64 v[73:74], 2, v[74:75]
	v_mov_b32_e32 v77, v86
	v_add_co_ci_u32_e32 v67, vcc_lo, v5, v67, vcc_lo
	v_lshlrev_b64 v[9:10], 2, v[9:10]
	v_mov_b32_e32 v59, v69
	v_mov_b32_e32 v69, v70
	v_add_co_u32 v70, vcc_lo, v4, v71
	v_mov_b32_e32 v79, v87
	v_add_co_ci_u32_e32 v71, vcc_lo, v5, v72, vcc_lo
	v_lshlrev_b64 v[75:76], 2, v[76:77]
	v_add_co_u32 v72, vcc_lo, v4, v73
	v_mov_b32_e32 v81, v88
	v_add_co_ci_u32_e32 v73, vcc_lo, v5, v74, vcc_lo
	v_lshlrev_b64 v[77:78], 2, v[78:79]
	;; [unrolled: 4-line block ×3, first 2 shown]
	v_add_co_u32 v74, vcc_lo, v4, v75
	v_add_co_ci_u32_e32 v75, vcc_lo, v5, v76, vcc_lo
	v_lshlrev_b64 v[81:82], 2, v[82:83]
	v_add_co_u32 v76, vcc_lo, v4, v77
	v_add_co_ci_u32_e32 v77, vcc_lo, v5, v78, vcc_lo
	v_add_co_u32 v78, vcc_lo, v4, v79
	v_add_co_ci_u32_e32 v79, vcc_lo, v5, v80, vcc_lo
	;; [unrolled: 2-line block ×3, first 2 shown]
	v_lshlrev_b64 v[58:59], 2, v[58:59]
	v_lshlrev_b64 v[68:69], 2, v[68:69]
	v_add_co_u32 v58, vcc_lo, v4, v58
	v_add_co_ci_u32_e32 v59, vcc_lo, v5, v59, vcc_lo
	v_add_co_u32 v68, vcc_lo, v4, v68
	v_add_co_ci_u32_e32 v69, vcc_lo, v5, v69, vcc_lo
	s_waitcnt vmcnt(4)
	v_mul_f16_sdwa v0, v34, v48 dst_sel:DWORD dst_unused:UNUSED_PAD src0_sel:DWORD src1_sel:WORD_1
	v_mul_f16_sdwa v13, v35, v49 dst_sel:DWORD dst_unused:UNUSED_PAD src0_sel:DWORD src1_sel:WORD_1
	;; [unrolled: 1-line block ×3, first 2 shown]
	s_waitcnt lgkmcnt(0)
	v_mul_f16_sdwa v83, v47, v49 dst_sel:DWORD dst_unused:UNUSED_PAD src0_sel:DWORD src1_sel:WORD_1
	s_waitcnt vmcnt(3)
	v_mul_f16_sdwa v84, v33, v6 dst_sel:DWORD dst_unused:UNUSED_PAD src0_sel:DWORD src1_sel:WORD_1
	v_mul_f16_sdwa v85, v32, v7 dst_sel:DWORD dst_unused:UNUSED_PAD src0_sel:DWORD src1_sel:WORD_1
	;; [unrolled: 1-line block ×4, first 2 shown]
	v_fma_f16 v0, v46, v48, -v0
	v_fma_f16 v13, v47, v49, -v13
	v_fmac_f16_e32 v82, v34, v48
	v_fmac_f16_e32 v83, v35, v49
	s_waitcnt vmcnt(2)
	v_mul_f16_sdwa v34, v31, v50 dst_sel:DWORD dst_unused:UNUSED_PAD src0_sel:DWORD src1_sel:WORD_1
	v_mul_f16_sdwa v35, v30, v51 dst_sel:DWORD dst_unused:UNUSED_PAD src0_sel:DWORD src1_sel:WORD_1
	;; [unrolled: 1-line block ×4, first 2 shown]
	v_fma_f16 v45, v45, v6, -v84
	v_fma_f16 v44, v44, v7, -v85
	v_fmac_f16_e32 v86, v33, v6
	v_fmac_f16_e32 v87, v32, v7
	v_add_f16_e32 v6, v0, v13
	v_add_f16_e32 v32, v82, v83
	v_sub_f16_e32 v33, v0, v13
	v_add_f16_e32 v0, v41, v0
	v_add_f16_e32 v48, v29, v82
	v_fma_f16 v34, v43, v50, -v34
	v_fma_f16 v35, v42, v51, -v35
	v_fmac_f16_e32 v46, v31, v50
	v_fmac_f16_e32 v47, v30, v51
	s_waitcnt vmcnt(1)
	v_mul_f16_sdwa v30, v28, v52 dst_sel:DWORD dst_unused:UNUSED_PAD src0_sel:DWORD src1_sel:WORD_1
	v_mul_f16_sdwa v31, v27, v53 dst_sel:DWORD dst_unused:UNUSED_PAD src0_sel:DWORD src1_sel:WORD_1
	;; [unrolled: 1-line block ×4, first 2 shown]
	v_sub_f16_e32 v7, v82, v83
	v_add_f16_e32 v49, v45, v44
	v_add_f16_e32 v51, v86, v87
	v_fma_f16 v6, -0.5, v6, v41
	v_fma_f16 v29, -0.5, v32, v29
	v_add_f16_e32 v0, v0, v13
	v_add_f16_e32 v13, v48, v83
	;; [unrolled: 1-line block ×3, first 2 shown]
	v_sub_f16_e32 v83, v34, v35
	v_add_f16_e32 v34, v37, v34
	v_fma_f16 v30, v40, v52, -v30
	v_fma_f16 v31, v39, v53, -v31
	v_fmac_f16_e32 v42, v28, v52
	v_fmac_f16_e32 v43, v27, v53
	s_waitcnt vmcnt(0)
	v_mul_f16_sdwa v27, v24, v54 dst_sel:DWORD dst_unused:UNUSED_PAD src0_sel:DWORD src1_sel:WORD_1
	v_mul_f16_sdwa v28, v23, v55 dst_sel:DWORD dst_unused:UNUSED_PAD src0_sel:DWORD src1_sel:WORD_1
	;; [unrolled: 1-line block ×4, first 2 shown]
	v_sub_f16_e32 v41, v46, v47
	v_add_f16_e32 v48, v46, v47
	v_add_f16_e32 v46, v25, v46
	v_sub_f16_e32 v50, v86, v87
	v_sub_f16_e32 v82, v45, v44
	v_add_f16_e32 v45, v38, v45
	v_add_f16_e32 v84, v26, v86
	v_fma_f16 v38, -0.5, v49, v38
	v_fma_f16 v26, -0.5, v51, v26
	v_fmamk_f16 v49, v7, 0xbaee, v6
	v_fmac_f16_e32 v6, 0x3aee, v7
	v_fma_f16 v7, -0.5, v32, v37
	v_add_f16_e32 v32, v34, v35
	v_add_f16_e32 v34, v30, v31
	v_fma_f16 v27, v36, v54, -v27
	v_fma_f16 v15, v15, v55, -v28
	v_fmac_f16_e32 v39, v24, v54
	v_fmac_f16_e32 v40, v23, v55
	v_fmamk_f16 v51, v33, 0x3aee, v29
	v_fmac_f16_e32 v29, 0xbaee, v33
	v_add_f16_e32 v33, v46, v47
	v_sub_f16_e32 v35, v42, v43
	v_add_f16_e32 v37, v42, v43
	v_sub_f16_e32 v46, v30, v31
	v_add_f16_e32 v30, v16, v30
	v_add_f16_e32 v42, v22, v42
	;; [unrolled: 1-line block ×4, first 2 shown]
	v_fmamk_f16 v23, v50, 0xbaee, v38
	v_fmamk_f16 v24, v82, 0x3aee, v26
	v_fmac_f16_e32 v38, 0x3aee, v50
	v_fmac_f16_e32 v26, 0xbaee, v82
	v_pack_b32_f16 v0, v13, v0
	v_fmamk_f16 v13, v41, 0xbaee, v7
	v_fmac_f16_e32 v7, 0x3aee, v41
	v_fma_f16 v16, -0.5, v34, v16
	v_add_f16_e32 v34, v27, v15
	v_add_f16_e32 v41, v39, v40
	v_fma_f16 v22, -0.5, v37, v22
	v_add_f16_e32 v30, v30, v31
	v_add_f16_e32 v31, v42, v43
	v_sub_f16_e32 v37, v39, v40
	v_sub_f16_e32 v42, v27, v15
	v_add_f16_e32 v27, v14, v27
	v_add_f16_e32 v39, v19, v39
	v_pack_b32_f16 v28, v45, v44
	v_pack_b32_f16 v26, v26, v38
	v_fma_f16 v14, -0.5, v34, v14
	v_fma_f16 v19, -0.5, v41, v19
	v_pack_b32_f16 v23, v24, v23
	v_fma_f16 v25, -0.5, v48, v25
	v_add_f16_e32 v15, v27, v15
	v_add_f16_e32 v27, v39, v40
	global_store_dword v[56:57], v28, off
	global_store_dword v[60:61], v26, off
	;; [unrolled: 1-line block ×3, first 2 shown]
	v_fmamk_f16 v23, v37, 0xbaee, v14
	v_fmamk_f16 v26, v42, 0x3aee, v19
	v_fmac_f16_e32 v14, 0x3aee, v37
	v_fmac_f16_e32 v19, 0xbaee, v42
	v_pack_b32_f16 v24, v33, v32
	v_pack_b32_f16 v6, v29, v6
	v_fmamk_f16 v29, v35, 0xbaee, v16
	v_fmamk_f16 v32, v46, 0x3aee, v22
	v_fmac_f16_e32 v16, 0x3aee, v35
	v_fmac_f16_e32 v22, 0xbaee, v46
	v_fmamk_f16 v36, v83, 0x3aee, v25
	v_fmac_f16_e32 v25, 0xbaee, v83
	v_pack_b32_f16 v15, v27, v15
	v_pack_b32_f16 v14, v19, v14
	;; [unrolled: 1-line block ×9, first 2 shown]
	global_store_dword v[11:12], v15, off
	global_store_dword v[64:65], v14, off
	;; [unrolled: 1-line block ×12, first 2 shown]
	s_and_b32 exec_lo, exec_lo, s0
	s_cbranch_execz .LBB0_33
; %bb.32:
	v_add_nc_u32_e32 v12, 0x177, v8
	v_subrev_nc_u32_e32 v0, 25, v8
	v_add_nc_u32_e32 v14, 0x307, v8
	v_add_nc_u32_e32 v15, 0x497, v8
	v_mad_u64_u32 v[6:7], null, s2, v12, 0
	v_cndmask_b32_e64 v0, v0, v12, s0
	v_mad_u64_u32 v[8:9], null, s2, v14, 0
	v_mad_u64_u32 v[10:11], null, s2, v15, 0
	v_lshlrev_b32_e32 v0, 1, v0
	v_mad_u64_u32 v[12:13], null, s3, v12, v[7:8]
	v_lshlrev_b64 v[0:1], 2, v[0:1]
	v_mad_u64_u32 v[13:14], null, s3, v14, v[9:10]
	v_add_co_u32 v0, vcc_lo, s8, v0
	v_add_co_ci_u32_e32 v1, vcc_lo, s9, v1, vcc_lo
	v_mad_u64_u32 v[14:15], null, s3, v15, v[11:12]
	v_mov_b32_e32 v7, v12
	global_load_dwordx2 v[0:1], v[0:1], off offset:1580
	v_mov_b32_e32 v9, v13
	v_lshlrev_b64 v[6:7], 2, v[6:7]
	v_mov_b32_e32 v11, v14
	v_lshlrev_b64 v[8:9], 2, v[8:9]
	v_add_co_u32 v6, vcc_lo, v4, v6
	v_add_co_ci_u32_e32 v7, vcc_lo, v5, v7, vcc_lo
	v_lshlrev_b64 v[10:11], 2, v[10:11]
	s_waitcnt vmcnt(0)
	v_mul_f16_sdwa v12, v20, v0 dst_sel:DWORD dst_unused:UNUSED_PAD src0_sel:DWORD src1_sel:WORD_1
	v_mul_f16_sdwa v13, v17, v0 dst_sel:DWORD dst_unused:UNUSED_PAD src0_sel:DWORD src1_sel:WORD_1
	;; [unrolled: 1-line block ×4, first 2 shown]
	v_fmac_f16_e32 v12, v17, v0
	v_fma_f16 v13, v20, v0, -v13
	v_fmac_f16_e32 v14, v18, v1
	v_fma_f16 v15, v21, v1, -v15
	v_add_co_u32 v0, vcc_lo, v4, v8
	v_add_co_ci_u32_e32 v1, vcc_lo, v5, v9, vcc_lo
	v_add_f16_e32 v8, v12, v14
	v_add_f16_e32 v16, v13, v15
	;; [unrolled: 1-line block ×3, first 2 shown]
	v_sub_f16_e32 v17, v13, v15
	v_add_f16_e32 v13, v3, v13
	v_fmac_f16_e32 v2, -0.5, v8
	v_sub_f16_e32 v8, v12, v14
	v_fmac_f16_e32 v3, -0.5, v16
	v_add_f16_e32 v9, v9, v14
	v_add_f16_e32 v12, v13, v15
	v_fmamk_f16 v13, v17, 0xbaee, v2
	v_fmac_f16_e32 v2, 0x3aee, v17
	v_fmamk_f16 v14, v8, 0x3aee, v3
	v_fmac_f16_e32 v3, 0xbaee, v8
	v_add_co_u32 v4, vcc_lo, v4, v10
	v_pack_b32_f16 v8, v9, v12
	v_pack_b32_f16 v9, v13, v14
	v_add_co_ci_u32_e32 v5, vcc_lo, v5, v11, vcc_lo
	v_pack_b32_f16 v2, v2, v3
	global_store_dword v[6:7], v8, off
	global_store_dword v[0:1], v9, off
	;; [unrolled: 1-line block ×3, first 2 shown]
.LBB0_33:
	s_endpgm
	.section	.rodata,"a",@progbits
	.p2align	6, 0x0
	.amdhsa_kernel fft_rtc_back_len1200_factors_5_5_16_3_wgs_225_tpt_75_halfLds_half_ip_CI_sbrr_dirReg
		.amdhsa_group_segment_fixed_size 0
		.amdhsa_private_segment_fixed_size 0
		.amdhsa_kernarg_size 88
		.amdhsa_user_sgpr_count 6
		.amdhsa_user_sgpr_private_segment_buffer 1
		.amdhsa_user_sgpr_dispatch_ptr 0
		.amdhsa_user_sgpr_queue_ptr 0
		.amdhsa_user_sgpr_kernarg_segment_ptr 1
		.amdhsa_user_sgpr_dispatch_id 0
		.amdhsa_user_sgpr_flat_scratch_init 0
		.amdhsa_user_sgpr_private_segment_size 0
		.amdhsa_wavefront_size32 1
		.amdhsa_uses_dynamic_stack 0
		.amdhsa_system_sgpr_private_segment_wavefront_offset 0
		.amdhsa_system_sgpr_workgroup_id_x 1
		.amdhsa_system_sgpr_workgroup_id_y 0
		.amdhsa_system_sgpr_workgroup_id_z 0
		.amdhsa_system_sgpr_workgroup_info 0
		.amdhsa_system_vgpr_workitem_id 0
		.amdhsa_next_free_vgpr 105
		.amdhsa_next_free_sgpr 23
		.amdhsa_reserve_vcc 1
		.amdhsa_reserve_flat_scratch 0
		.amdhsa_float_round_mode_32 0
		.amdhsa_float_round_mode_16_64 0
		.amdhsa_float_denorm_mode_32 3
		.amdhsa_float_denorm_mode_16_64 3
		.amdhsa_dx10_clamp 1
		.amdhsa_ieee_mode 1
		.amdhsa_fp16_overflow 0
		.amdhsa_workgroup_processor_mode 1
		.amdhsa_memory_ordered 1
		.amdhsa_forward_progress 0
		.amdhsa_shared_vgpr_count 0
		.amdhsa_exception_fp_ieee_invalid_op 0
		.amdhsa_exception_fp_denorm_src 0
		.amdhsa_exception_fp_ieee_div_zero 0
		.amdhsa_exception_fp_ieee_overflow 0
		.amdhsa_exception_fp_ieee_underflow 0
		.amdhsa_exception_fp_ieee_inexact 0
		.amdhsa_exception_int_div_zero 0
	.end_amdhsa_kernel
	.text
.Lfunc_end0:
	.size	fft_rtc_back_len1200_factors_5_5_16_3_wgs_225_tpt_75_halfLds_half_ip_CI_sbrr_dirReg, .Lfunc_end0-fft_rtc_back_len1200_factors_5_5_16_3_wgs_225_tpt_75_halfLds_half_ip_CI_sbrr_dirReg
                                        ; -- End function
	.section	.AMDGPU.csdata,"",@progbits
; Kernel info:
; codeLenInByte = 12332
; NumSgprs: 25
; NumVgprs: 105
; ScratchSize: 0
; MemoryBound: 0
; FloatMode: 240
; IeeeMode: 1
; LDSByteSize: 0 bytes/workgroup (compile time only)
; SGPRBlocks: 3
; VGPRBlocks: 13
; NumSGPRsForWavesPerEU: 25
; NumVGPRsForWavesPerEU: 105
; Occupancy: 9
; WaveLimiterHint : 1
; COMPUTE_PGM_RSRC2:SCRATCH_EN: 0
; COMPUTE_PGM_RSRC2:USER_SGPR: 6
; COMPUTE_PGM_RSRC2:TRAP_HANDLER: 0
; COMPUTE_PGM_RSRC2:TGID_X_EN: 1
; COMPUTE_PGM_RSRC2:TGID_Y_EN: 0
; COMPUTE_PGM_RSRC2:TGID_Z_EN: 0
; COMPUTE_PGM_RSRC2:TIDIG_COMP_CNT: 0
	.text
	.p2alignl 6, 3214868480
	.fill 48, 4, 3214868480
	.type	__hip_cuid_450e6bb6445378c8,@object ; @__hip_cuid_450e6bb6445378c8
	.section	.bss,"aw",@nobits
	.globl	__hip_cuid_450e6bb6445378c8
__hip_cuid_450e6bb6445378c8:
	.byte	0                               ; 0x0
	.size	__hip_cuid_450e6bb6445378c8, 1

	.ident	"AMD clang version 19.0.0git (https://github.com/RadeonOpenCompute/llvm-project roc-6.4.0 25133 c7fe45cf4b819c5991fe208aaa96edf142730f1d)"
	.section	".note.GNU-stack","",@progbits
	.addrsig
	.addrsig_sym __hip_cuid_450e6bb6445378c8
	.amdgpu_metadata
---
amdhsa.kernels:
  - .args:
      - .actual_access:  read_only
        .address_space:  global
        .offset:         0
        .size:           8
        .value_kind:     global_buffer
      - .offset:         8
        .size:           8
        .value_kind:     by_value
      - .actual_access:  read_only
        .address_space:  global
        .offset:         16
        .size:           8
        .value_kind:     global_buffer
      - .actual_access:  read_only
        .address_space:  global
        .offset:         24
        .size:           8
        .value_kind:     global_buffer
      - .offset:         32
        .size:           8
        .value_kind:     by_value
      - .actual_access:  read_only
        .address_space:  global
        .offset:         40
        .size:           8
        .value_kind:     global_buffer
      - .actual_access:  read_only
        .address_space:  global
        .offset:         48
        .size:           8
        .value_kind:     global_buffer
      - .offset:         56
        .size:           4
        .value_kind:     by_value
      - .actual_access:  read_only
        .address_space:  global
        .offset:         64
        .size:           8
        .value_kind:     global_buffer
      - .actual_access:  read_only
        .address_space:  global
        .offset:         72
        .size:           8
        .value_kind:     global_buffer
      - .address_space:  global
        .offset:         80
        .size:           8
        .value_kind:     global_buffer
    .group_segment_fixed_size: 0
    .kernarg_segment_align: 8
    .kernarg_segment_size: 88
    .language:       OpenCL C
    .language_version:
      - 2
      - 0
    .max_flat_workgroup_size: 225
    .name:           fft_rtc_back_len1200_factors_5_5_16_3_wgs_225_tpt_75_halfLds_half_ip_CI_sbrr_dirReg
    .private_segment_fixed_size: 0
    .sgpr_count:     25
    .sgpr_spill_count: 0
    .symbol:         fft_rtc_back_len1200_factors_5_5_16_3_wgs_225_tpt_75_halfLds_half_ip_CI_sbrr_dirReg.kd
    .uniform_work_group_size: 1
    .uses_dynamic_stack: false
    .vgpr_count:     105
    .vgpr_spill_count: 0
    .wavefront_size: 32
    .workgroup_processor_mode: 1
amdhsa.target:   amdgcn-amd-amdhsa--gfx1030
amdhsa.version:
  - 1
  - 2
...

	.end_amdgpu_metadata
